;; amdgpu-corpus repo=ROCm/aiter kind=harvested arch=n/a opt=n/a

/root/src/amdgpu-assembly/repos/ROCm__aiter/hsa/gfx942/fmha_v3_bwd/bwd_hd128_bf16_a32_rtz_psskddv_group.co:	file format elf64-amdgpu

Disassembly of section .text:

0000000000003e00 <_ZN5aiter41fmha_bwd_hd128_bf16_a32_rtz_psskddv_groupE>:
	s_and_b32 s1, s1, 0xffff                                   // 000000003E00: 8601FF01 0000FFFF
	s_load_dwordx2 s[32:33], s[0:1], 0x0                       // 000000003E08: C0060800 00000000
	s_load_dwordx2 s[36:37], s[0:1], 0x10                      // 000000003E10: C0060900 00000010
	s_load_dwordx2 s[40:41], s[0:1], 0x20                      // 000000003E18: C0060A00 00000020
	s_load_dwordx2 s[8:9], s[0:1], 0x30                        // 000000003E20: C0060200 00000030
	s_load_dwordx2 s[12:13], s[0:1], 0x40                      // 000000003E28: C0060300 00000040
	s_load_dwordx2 s[16:17], s[0:1], 0x50                      // 000000003E30: C0060400 00000050
	s_load_dwordx2 s[20:21], s[0:1], 0x60                      // 000000003E38: C0060500 00000060
	s_load_dwordx2 s[24:25], s[0:1], 0x70                      // 000000003E40: C0060600 00000070
	s_load_dwordx2 s[28:29], s[0:1], 0x80                      // 000000003E48: C0060700 00000080
	s_load_dword s47, s[0:1], 0x90                             // 000000003E50: C0020BC0 00000090
	s_load_dword s48, s[0:1], 0xa0                             // 000000003E58: C0020C00 000000A0
	s_load_dword s74, s[0:1], 0xd0                             // 000000003E60: C0021280 000000D0
	s_load_dword s5, s[0:1], 0xf0                              // 000000003E68: C0020140 000000F0
	s_load_dword s44, s[0:1], 0x100                            // 000000003E70: C0020B00 00000100
	s_load_dword s75, s[0:1], 0x110                            // 000000003E78: C00212C0 00000110
	s_load_dword s6, s[0:1], 0x130                             // 000000003E80: C0020180 00000130
	s_load_dword s52, s[0:1], 0x140                            // 000000003E88: C0020D00 00000140
	s_load_dword s50, s[0:1], 0x160                            // 000000003E90: C0020C80 00000160
	s_load_dword s76, s[0:1], 0x190                            // 000000003E98: C0021300 00000190
	s_load_dword s7, s[0:1], 0x1b0                             // 000000003EA0: C00201C0 000001B0
	s_load_dword s77, s[0:1], 0x1c0                            // 000000003EA8: C0021340 000001C0
	s_load_dword s51, s[0:1], 0x1e0                            // 000000003EB0: C0020CC0 000001E0
	s_load_dword s78, s[0:1], 0x1f0                            // 000000003EB8: C0021380 000001F0
	s_load_dword s79, s[0:1], 0x210                            // 000000003EC0: C00213C0 00000210
	s_load_dword s53, s[0:1], 0x230                            // 000000003EC8: C0020D40 00000230
	s_load_dword s49, s[0:1], 0x240                            // 000000003ED0: C0020C40 00000240
	s_load_dwordx2 s[84:85], s[0:1], 0x250                     // 000000003ED8: C0061500 00000250
	s_load_dwordx2 s[88:89], s[0:1], 0x260                     // 000000003EE0: C0061600 00000260
	s_load_dwordx2 s[92:93], s[0:1], 0x270                     // 000000003EE8: C0061700 00000270
	s_load_dwordx2 s[96:97], s[0:1], 0x280                     // 000000003EF0: C0061800 00000280
	v_lshrrev_b32_e32 v1, 10, v0                               // 000000003EF8: 2002008A
	v_lshrrev_b32_e32 v2, 10, v1                               // 000000003EFC: 2004028A
	v_and_b32_e32 v2, 0x3ff, v2                                // 000000003F00: 260404FF 000003FF
	v_and_b32_e32 v1, 0x3ff, v1                                // 000000003F08: 260202FF 000003FF
	v_and_b32_e32 v0, 0x3ff, v0                                // 000000003F10: 260000FF 000003FF
	v_lshrrev_b32_e32 v3, 6, v0                                // 000000003F18: 20060086
	v_and_b32_e32 v0, 63, v0                                   // 000000003F1C: 260000BF
	s_mov_b32 s2, s2                                           // 000000003F20: BE820002
	s_mov_b32 s3, s3                                           // 000000003F24: BE830003
	s_mov_b32 s4, s4                                           // 000000003F28: BE840004
	v_readfirstlane_b32 s46, v3                                // 000000003F2C: 7E5C0503
	s_waitcnt lgkmcnt(0)                                       // 000000003F30: BF8CC07F
	s_mul_i32 s60, s4, 4                                       // 000000003F34: 923C8404
	s_add_u32 s84, s60, s84                                    // 000000003F38: 8054543C
	s_addc_u32 s85, 0, s85                                     // 000000003F3C: 82555580
	s_load_dwordx2 s[80:81], s[84:85], 0x0                     // 000000003F40: C006142A 00000000
	s_add_u32 s92, s60, s92                                    // 000000003F48: 805C5C3C
	s_addc_u32 s93, 0, s93                                     // 000000003F4C: 825D5D80
	s_load_dword s86, s[92:93], 0x0                            // 000000003F50: C00215AE 00000000
	s_add_u32 s88, s60, s88                                    // 000000003F58: 8058583C
	s_addc_u32 s89, 0, s89                                     // 000000003F5C: 82595980
	s_load_dwordx2 s[82:83], s[88:89], 0x0                     // 000000003F60: C00614AC 00000000
	s_add_u32 s96, s60, s96                                    // 000000003F68: 8060603C
	s_addc_u32 s97, 0, s97                                     // 000000003F6C: 82616180
	s_load_dword s87, s[96:97], 0x0                            // 000000003F70: C00215F0 00000000
	s_mov_b32 s11, 0x20000                                     // 000000003F78: BE8B00FF 00020000
	s_mov_b32 s15, 0x20000                                     // 000000003F80: BE8F00FF 00020000
	s_mov_b32 s19, 0x20000                                     // 000000003F88: BE9300FF 00020000
	s_mov_b32 s23, 0x20000                                     // 000000003F90: BE9700FF 00020000
	s_mov_b32 s27, 0x20000                                     // 000000003F98: BE9B00FF 00020000
	s_mov_b32 s31, 0x20000                                     // 000000003FA0: BE9F00FF 00020000
	s_mov_b32 s35, 0x20000                                     // 000000003FA8: BEA300FF 00020000
	s_mov_b32 s39, 0x20000                                     // 000000003FB0: BEA700FF 00020000
	s_mov_b32 s43, 0x20000                                     // 000000003FB8: BEAB00FF 00020000
	s_and_b32 s9, s9, 0xffff                                   // 000000003FC0: 8609FF09 0000FFFF
	s_and_b32 s13, s13, 0xffff                                 // 000000003FC8: 860DFF0D 0000FFFF
	s_and_b32 s17, s17, 0xffff                                 // 000000003FD0: 8611FF11 0000FFFF
	s_and_b32 s21, s21, 0xffff                                 // 000000003FD8: 8615FF15 0000FFFF
	s_and_b32 s25, s25, 0xffff                                 // 000000003FE0: 8619FF19 0000FFFF
	s_and_b32 s29, s29, 0xffff                                 // 000000003FE8: 861DFF1D 0000FFFF
	s_and_b32 s33, s33, 0xffff                                 // 000000003FF0: 8621FF21 0000FFFF
	s_and_b32 s37, s37, 0xffff                                 // 000000003FF8: 8625FF25 0000FFFF
	s_and_b32 s41, s41, 0xffff                                 // 000000004000: 8629FF29 0000FFFF
	s_or_b32 s9, s9, 0x40000                                   // 000000004008: 8709FF09 00040000
	s_or_b32 s13, s13, 0x40000                                 // 000000004010: 870DFF0D 00040000
	s_or_b32 s17, s17, 0x40000                                 // 000000004018: 8711FF11 00040000
	s_or_b32 s21, s21, 0x40000                                 // 000000004020: 8715FF15 00040000
	s_or_b32 s25, s25, 0x40000                                 // 000000004028: 8719FF19 00040000
	s_or_b32 s29, s29, 0x40000                                 // 000000004030: 871DFF1D 00040000
	s_or_b32 s33, s33, 0x40000                                 // 000000004038: 8721FF21 00040000
	s_or_b32 s37, s37, 0x40000                                 // 000000004040: 8725FF25 00040000
	s_or_b32 s41, s41, 0x40000                                 // 000000004048: 8729FF29 00040000
	s_waitcnt lgkmcnt(0)                                       // 000000004050: BF8CC07F
	s_mul_i32 s61, s2, 0xc0                                    // 000000004054: 923DFF02 000000C0
	s_sub_i32 s83, s83, s82                                    // 00000000405C: 81D35253
	s_mov_b32 s82, s87                                         // 000000004060: BED20057
	s_sub_i32 s81, s81, s80                                    // 000000004064: 81D15051
	s_mov_b32 s80, s86                                         // 000000004068: BED00056
	s_cmp_gt_i32 s81, 0                                        // 00000000406C: BF028051
	s_cbranch_scc0 label_1EDA                                  // 000000004070: BF841E29
	s_mov_b32 s58, s81                                         // 000000004074: BEBA0051
	s_mov_b32 s59, 0                                           // 000000004078: BEBB0080
	s_cmp_ge_i32 s61, s83                                      // 00000000407C: BF03533D
	s_cbranch_scc1 label_1EDA                                  // 000000004080: BF851E25
	v_accvgpr_write_b32 a255, 0                                // 000000004084: D3D940FF 18000080
	v_mov_b32_e32 v255, 0                                      // 00000000408C: 7FFE0280
	s_mov_b32 s71, s3                                          // 000000004090: BEC70003
	v_cvt_f32_u32_e32 v28, s44                                 // 000000004094: 7E380C2C
	s_sub_i32 s60, 0, s44                                      // 000000004098: 81BC2C80
	v_rcp_iflag_f32_e32 v28, v28                               // 00000000409C: 7E38471C
	s_nop 0                                                    // 0000000040A0: BF800000
	v_mul_f32_e32 v28, 0x4f7ffffe, v28                         // 0000000040A4: 0A3838FF 4F7FFFFE
	v_cvt_u32_f32_e32 v28, v28                                 // 0000000040AC: 7E380F1C
	v_mul_lo_u32 v29, s60, v28                                 // 0000000040B0: D285001D 0002383C
	v_mul_hi_u32 v29, v28, v29                                 // 0000000040B8: D286001D 00023B1C
	v_add_u32_e32 v28, v28, v29                                // 0000000040C0: 68383B1C
	v_mul_hi_u32 v28, s71, v28                                 // 0000000040C4: D286001C 00023847
	v_mul_lo_u32 v29, v28, s44                                 // 0000000040CC: D285001D 0000591C
	v_sub_u32_e32 v31, s71, v29                                // 0000000040D4: 6A3E3A47
	v_add_u32_e32 v30, 1, v28                                  // 0000000040D8: 683C3881
	v_cmp_le_u32_e32 vcc, s44, v31                             // 0000000040DC: 7D963E2C
	v_subrev_u32_e32 v29, s44, v31                             // 0000000040E0: 6C3A3E2C
	s_nop 0                                                    // 0000000040E4: BF800000
	v_cndmask_b32_e32 v28, v28, v30, vcc                       // 0000000040E8: 00383D1C
	v_cndmask_b32_e32 v31, v31, v29, vcc                       // 0000000040EC: 003E3B1F
	v_add_u32_e32 v29, 1, v28                                  // 0000000040F0: 683A3881
	v_cmp_le_u32_e32 vcc, s44, v31                             // 0000000040F4: 7D963E2C
	s_nop 1                                                    // 0000000040F8: BF800001
	v_cndmask_b32_e32 v31, v28, v29, vcc                       // 0000000040FC: 003E3B1C
	s_nop 3                                                    // 000000004100: BF800003
	v_readfirstlane_b32 s45, v31                               // 000000004104: 7E5A051F
	s_nop 3                                                    // 000000004108: BF800003
	s_mov_b32 s84, s8                                          // 00000000410C: BED40008
	s_mov_b32 s86, s12                                         // 000000004110: BED6000C
	s_mov_b32 s88, s16                                         // 000000004114: BED80010
	s_mov_b32 s90, s20                                         // 000000004118: BEDA0014
	s_mov_b32 s85, s9                                          // 00000000411C: BED50009
	s_mov_b32 s87, s13                                         // 000000004120: BED7000D
	s_mov_b32 s89, s17                                         // 000000004124: BED90011
	s_mov_b32 s91, s21                                         // 000000004128: BEDB0015
	v_mov_b32_e32 v28, s47                                     // 00000000412C: 7E38022F
	v_mul_f32_e32 v28, s48, v28                                // 000000004130: 0A383830
	s_mov_b32 s66, 0                                           // 000000004134: BEC20080
	s_mov_b32 s63, 0x5040100                                   // 000000004138: BEBF00FF 05040100
	s_mov_b32 s64, 0x7060302                                   // 000000004140: BEC000FF 07060302
	v_readfirstlane_b32 s57, v28                               // 000000004148: 7E72051C
	v_mov_b32_e32 v30, 0x3020706                               // 00000000414C: 7E3C02FF 03020706
	v_mov_b32_e32 v28, s63                                     // 000000004154: 7E38023F
	v_and_b32_e32 v29, 1, v0                                   // 000000004158: 263A0081
	v_cmp_eq_u32_e32 vcc, 1, v29                               // 00000000415C: 7D943A81
	s_mul_i32 s60, s50, 64                                     // 000000004160: 923CC032
	s_mov_b32 s67, s60                                         // 000000004164: BEC3003C
	v_cndmask_b32_e32 v15, v28, v30, vcc                       // 000000004168: 001E3D1C
	v_mov_b32_e32 v151, 0xff800000                             // 00000000416C: 7F2E02FF FF800000
	s_mul_i32 s68, 4, s5                                       // 000000004174: 92440584
	s_mul_i32 s101, 4, s51                                     // 000000004178: 92653384
	s_mov_b32 s69, 16                                          // 00000000417C: BEC50090
	s_mul_i32 s60, s6, 0xc0                                    // 000000004180: 923CFF06 000000C0
	s_mul_i32 s60, s2, s60                                     // 000000004188: 923C3C02
	s_mul_i32 s61, s45, s75                                    // 00000000418C: 923D4B2D
	s_add_u32 s54, s60, s61                                    // 000000004190: 80363D3C
	s_mul_i32 s60, s2, 0xc0                                    // 000000004194: 923CFF02 000000C0
	s_sub_i32 s60, s83, s60                                    // 00000000419C: 81BC3C53
	s_mul_i32 s60, s6, s60                                     // 0000000041A0: 923C3C06
	s_lshr_b32 s60, s60, 2                                     // 0000000041A4: 8F3C823C
	s_mov_b32 s14, s60                                         // 0000000041A8: BE8E003C
	s_add_u32 s12, s54, s86                                    // 0000000041AC: 800C5636
	s_addc_u32 s13, 0, s87                                     // 0000000041B0: 820D5780
	s_mul_i32 s60, s82, s6                                     // 0000000041B4: 923C0652
	s_mul_hi_u32 s61, s82, s6                                  // 0000000041B8: 963D0652
	s_and_b32 s61, s61, 0xffff                                 // 0000000041BC: 863DFF3D 0000FFFF
	s_add_u32 s12, s12, s60                                    // 0000000041C4: 800C3C0C
	s_addc_u32 s13, s13, s61                                   // 0000000041C8: 820D3D0D
	s_mul_i32 s60, s7, 0xc0                                    // 0000000041CC: 923CFF07 000000C0
	s_mul_i32 s60, s2, s60                                     // 0000000041D4: 923C3C02
	s_mul_i32 s61, s45, s76                                    // 0000000041D8: 923D4C2D
	s_add_u32 s54, s60, s61                                    // 0000000041DC: 80363D3C
	s_mul_i32 s60, s2, 0xc0                                    // 0000000041E0: 923CFF02 000000C0
	s_sub_i32 s60, s83, s60                                    // 0000000041E8: 81BC3C53
	s_mul_i32 s60, s7, s60                                     // 0000000041EC: 923C3C07
	s_lshr_b32 s60, s60, 2                                     // 0000000041F0: 8F3C823C
	s_mov_b32 s18, s60                                         // 0000000041F4: BE92003C
	s_add_u32 s16, s54, s88                                    // 0000000041F8: 80105836
	s_addc_u32 s17, 0, s89                                     // 0000000041FC: 82115980
	s_mul_i32 s60, s82, s7                                     // 000000004200: 923C0752
	s_mul_hi_u32 s61, s82, s7                                  // 000000004204: 963D0752
	s_and_b32 s61, s61, 0xffff                                 // 000000004208: 863DFF3D 0000FFFF
	s_add_u32 s16, s16, s60                                    // 000000004210: 80103C10
	s_addc_u32 s17, s17, s61                                   // 000000004214: 82113D11
	s_mul_i32 s61, s3, s74                                     // 000000004218: 923D4A03
	s_mov_b32 s55, s61                                         // 00000000421C: BEB7003D
	s_mul_i32 s60, s5, s81                                     // 000000004220: 923C5105
	s_lshr_b32 s60, s60, 2                                     // 000000004224: 8F3C823C
	s_mov_b32 s10, s60                                         // 000000004228: BE8A003C
	s_add_u32 s8, s55, s84                                     // 00000000422C: 80085437
	s_addc_u32 s9, 0, s85                                      // 000000004230: 82095580
	s_mul_i32 s60, s80, s5                                     // 000000004234: 923C0550
	s_mul_hi_u32 s61, s80, s5                                  // 000000004238: 963D0550
	s_and_b32 s61, s61, 0xffff                                 // 00000000423C: 863DFF3D 0000FFFF
	s_add_u32 s8, s8, s60                                      // 000000004244: 80083C08
	s_addc_u32 s9, s9, s61                                     // 000000004248: 82093D09
	s_mul_i32 s61, s3, s77                                     // 00000000424C: 923D4D03
	s_mov_b32 s56, s61                                         // 000000004250: BEB8003D
	s_mul_i32 s60, s51, s81                                    // 000000004254: 923C5133
	s_lshr_b32 s60, s60, 2                                     // 000000004258: 8F3C823C
	s_mov_b32 s22, s60                                         // 00000000425C: BE96003C
	s_add_u32 s20, s56, s90                                    // 000000004260: 80145A38
	s_addc_u32 s21, 0, s91                                     // 000000004264: 82155B80
	s_mul_i32 s60, s80, s51                                    // 000000004268: 923C3350
	s_mul_hi_u32 s61, s80, s51                                 // 00000000426C: 963D3350
	s_and_b32 s61, s61, 0xffff                                 // 000000004270: 863DFF3D 0000FFFF
	s_add_u32 s20, s20, s60                                    // 000000004278: 80143C14
	s_addc_u32 s21, s21, s61                                   // 00000000427C: 82153D15
	s_mul_i32 s62, 4, s80                                      // 000000004280: 923E5084
	s_mul_i32 s61, s3, s49                                     // 000000004284: 923D3103
	s_add_u32 s65, s61, s62                                    // 000000004288: 80413E3D
	s_mul_i32 s60, 4, s81                                      // 00000000428C: 923C5184
	s_add_u32 s60, s60, s61                                    // 000000004290: 803C3D3C
	s_add_u32 s60, s60, s62                                    // 000000004294: 803C3E3C
	s_lshr_b32 s60, s60, 2                                     // 000000004298: 8F3C823C
	s_mov_b32 s26, s60                                         // 00000000429C: BE9A003C
	s_mov_b32 s30, s60                                         // 0000000042A0: BE9E003C
	s_cmp_lt_u32 s46, 2                                        // 0000000042A4: BF0A822E
	s_cselect_b32 s24, s24, s28                                // 0000000042A8: 85181C18
	s_cselect_b32 s25, s25, s29                                // 0000000042AC: 85191D19
	s_cselect_b32 s26, s26, s30                                // 0000000042B0: 851A1E1A
	s_cselect_b32 s27, s27, s31                                // 0000000042B4: 851B1F1B
	s_mov_b32 s71, s6                                          // 0000000042B8: BEC70006
	v_lshrrev_b32_e32 v28, 4, v0                               // 0000000042BC: 20380084
	v_and_b32_e32 v29, 1, v28                                  // 0000000042C0: 263A3881
	v_lshlrev_b32_e32 v29, 1, v29                              // 0000000042C4: 243A3A81
	v_mul_i32_i24_e32 v29, s71, v29                            // 0000000042C8: 0C3A3A47
	v_and_b32_e32 v30, 2, v28                                  // 0000000042CC: 263C3882
	v_lshlrev_b32_e32 v30, 5, v30                              // 0000000042D0: 243C3C85
	v_add_u32_e32 v29, v30, v29                                // 0000000042D4: 683A3B1E
	v_and_b32_e32 v28, 15, v0                                  // 0000000042D8: 2638008F
	v_lshlrev_b32_e32 v28, 2, v28                              // 0000000042DC: 24383882
	v_add_u32_e32 v1, v28, v29                                 // 0000000042E0: 68023B1C
	s_and_b32 s60, 1, s46                                      // 0000000042E4: 863C2E81
	s_mul_i32 s60, s60, s71                                    // 0000000042E8: 923C473C
	s_mul_i32 s60, s60, 8                                      // 0000000042EC: 923C883C
	s_lshr_b32 s61, s46, 1                                     // 0000000042F0: 8F3D812E
	s_mul_i32 s61, s61, 0x80                                   // 0000000042F4: 923DFF3D 00000080
	s_add_u32 s60, s60, s61                                    // 0000000042FC: 803C3D3C
	v_add_u32_e32 v1, s60, v1                                  // 000000004300: 6802023C
	v_add_u32_e32 v2, s71, v1                                  // 000000004304: 68040247
	s_mul_i32 s60, 4, s71                                      // 000000004308: 923C4784
	v_add_u32_e32 v3, s60, v1                                  // 00000000430C: 6806023C
	v_add_u32_e32 v4, s60, v2                                  // 000000004310: 6808043C
	s_mov_b32 s71, s7                                          // 000000004314: BEC70007
	v_lshrrev_b32_e32 v28, 4, v0                               // 000000004318: 20380084
	v_and_b32_e32 v29, 1, v28                                  // 00000000431C: 263A3881
	v_lshlrev_b32_e32 v29, 1, v29                              // 000000004320: 243A3A81
	v_mul_i32_i24_e32 v29, s71, v29                            // 000000004324: 0C3A3A47
	v_and_b32_e32 v30, 2, v28                                  // 000000004328: 263C3882
	v_lshlrev_b32_e32 v30, 5, v30                              // 00000000432C: 243C3C85
	v_add_u32_e32 v29, v30, v29                                // 000000004330: 683A3B1E
	v_and_b32_e32 v28, 15, v0                                  // 000000004334: 2638008F
	v_lshlrev_b32_e32 v28, 2, v28                              // 000000004338: 24383882
	v_add_u32_e32 v252, v28, v29                               // 00000000433C: 69F83B1C
	s_and_b32 s60, 1, s46                                      // 000000004340: 863C2E81
	s_mul_i32 s60, s60, s71                                    // 000000004344: 923C473C
	s_mul_i32 s60, s60, 8                                      // 000000004348: 923C883C
	s_lshr_b32 s61, s46, 1                                     // 00000000434C: 8F3D812E
	s_mul_i32 s61, s61, 0x80                                   // 000000004350: 923DFF3D 00000080
	s_add_u32 s60, s60, s61                                    // 000000004358: 803C3D3C
	v_add_u32_e32 v252, s60, v252                              // 00000000435C: 69F9F83C
	v_add_u32_e32 v253, s71, v252                              // 000000004360: 69FBF847
	s_mul_i32 s60, 4, s71                                      // 000000004364: 923C4784
	v_add_u32_e32 v254, s60, v252                              // 000000004368: 69FDF83C
	v_add_u32_e32 v255, s60, v253                              // 00000000436C: 69FFFA3C
	v_lshrrev_b32_e32 v1, 2, v1                                // 000000004370: 20020282
	v_lshrrev_b32_e32 v2, 2, v2                                // 000000004374: 20040482
	;; [unrolled: 1-line block ×3, first 2 shown]
	v_lshrrev_b32_e32 v4, 2, v4                                // 00000000437C: 20080882
	v_lshrrev_b32_e32 v252, 2, v252                            // 000000004380: 21F9F882
	v_lshrrev_b32_e32 v253, 2, v253                            // 000000004384: 21FBFA82
	v_lshrrev_b32_e32 v254, 2, v254                            // 000000004388: 21FDFC82
	v_lshrrev_b32_e32 v255, 2, v255                            // 00000000438C: 21FFFE82
	v_and_b32_e32 v9, 15, v0                                   // 000000004390: 2612008F
	v_lshlrev_b32_e32 v9, 2, v9                                // 000000004394: 24121282
	v_add_u32_e32 v9, s65, v9                                  // 000000004398: 68121241
	v_lshrrev_b32_e32 v9, 2, v9                                // 00000000439C: 20121282
	s_mov_b32 s70, s52                                         // 0000000043A0: BEC60034
	v_lshrrev_b32_e32 v28, 4, v0                               // 0000000043A4: 20380084
	v_mul_i32_i24_e32 v5, s70, v28                             // 0000000043A8: 0C0A3846
	v_lshrrev_b32_e32 v5, 2, v5                                // 0000000043AC: 200A0A82
	v_and_b32_e32 v28, 15, v0                                  // 0000000043B0: 2638008F
	v_lshlrev_b32_e32 v29, 2, v28                              // 0000000043B4: 243A3882
	v_add_u32_e32 v5, v29, v5                                  // 0000000043B8: 680A0B1D
	s_mul_i32 s60, 16, s70                                     // 0000000043BC: 923C4690
	s_mul_i32 s60, s46, s60                                    // 0000000043C0: 923C3C2E
	v_lshlrev_b32_e32 v5, 2, v5                                // 0000000043C4: 240A0A82
	v_add_u32_e32 v5, s60, v5                                  // 0000000043C8: 680A0A3C
	s_mul_i32 s60, 0xc0, s52                                   // 0000000043CC: 923C34FF 000000C0
	s_mul_i32 s60, s2, s60                                     // 0000000043D4: 923C3C02
	s_mul_i32 s61, s3, s78                                     // 0000000043D8: 923D4E03
	s_mul_i32 s62, s82, s52                                    // 0000000043DC: 923E3452
	s_add_u32 s60, s60, s61                                    // 0000000043E0: 803C3D3C
	v_add_u32_e32 v5, s60, v5                                  // 0000000043E4: 680A0A3C
	v_lshrrev_b32_e32 v5, 2, v5                                // 0000000043E8: 200A0A82
	s_mul_i32 s60, s83, s52                                    // 0000000043EC: 923C3453
	s_add_u32 s60, s60, s61                                    // 0000000043F0: 803C3D3C
	s_lshr_b32 s60, s60, 2                                     // 0000000043F4: 8F3C823C
	s_mov_b32 s38, s60                                         // 0000000043F8: BEA6003C
	s_mul_hi_u32 s61, s82, s52                                 // 0000000043FC: 963D3452
	s_and_b32 s61, s61, 0xffff                                 // 000000004400: 863DFF3D 0000FFFF
	s_add_u32 s36, s62, s36                                    // 000000004408: 8024243E
	s_addc_u32 s37, s61, s37                                   // 00000000440C: 8225253D
	s_mov_b32 s70, s53                                         // 000000004410: BEC60035
	v_lshrrev_b32_e32 v28, 4, v0                               // 000000004414: 20380084
	v_mul_i32_i24_e32 v6, s70, v28                             // 000000004418: 0C0C3846
	v_lshrrev_b32_e32 v6, 2, v6                                // 00000000441C: 200C0C82
	v_and_b32_e32 v28, 15, v0                                  // 000000004420: 2638008F
	v_lshlrev_b32_e32 v29, 2, v28                              // 000000004424: 243A3882
	v_add_u32_e32 v6, v29, v6                                  // 000000004428: 680C0D1D
	s_mul_i32 s60, 16, s70                                     // 00000000442C: 923C4690
	s_mul_i32 s60, s46, s60                                    // 000000004430: 923C3C2E
	v_lshlrev_b32_e32 v6, 2, v6                                // 000000004434: 240C0C82
	v_add_u32_e32 v6, s60, v6                                  // 000000004438: 680C0C3C
	s_mul_i32 s60, 0xc0, s53                                   // 00000000443C: 923C35FF 000000C0
	s_mul_i32 s60, s2, s60                                     // 000000004444: 923C3C02
	s_mul_i32 s61, s3, s79                                     // 000000004448: 923D4F03
	s_mul_i32 s62, s82, s53                                    // 00000000444C: 923E3552
	s_add_u32 s60, s60, s61                                    // 000000004450: 803C3D3C
	v_add_u32_e32 v6, s60, v6                                  // 000000004454: 680C0C3C
	v_lshrrev_b32_e32 v6, 2, v6                                // 000000004458: 200C0C82
	s_mul_i32 s60, s83, s53                                    // 00000000445C: 923C3553
	s_add_u32 s60, s60, s61                                    // 000000004460: 803C3D3C
	s_lshr_b32 s60, s60, 2                                     // 000000004464: 8F3C823C
	s_mov_b32 s42, s60                                         // 000000004468: BEAA003C
	s_mul_hi_u32 s61, s82, s53                                 // 00000000446C: 963D3552
	s_and_b32 s61, s61, 0xffff                                 // 000000004470: 863DFF3D 0000FFFF
	s_add_u32 s40, s62, s40                                    // 000000004478: 8028283E
	s_addc_u32 s41, s61, s41                                   // 00000000447C: 8229293D
	v_lshrrev_b32_e32 v28, 5, v0                               // 000000004480: 20380085
	v_mul_i32_i24_e64 v29, s50, 2                              // 000000004484: D106001D 00010432
	v_mul_i32_i24_e32 v7, v29, v28                             // 00000000448C: 0C0E391D
	v_and_b32_e32 v28, 31, v0                                  // 000000004490: 2638009F
	v_add_u32_e32 v7, v28, v7                                  // 000000004494: 680E0F1C
	s_mul_i32 s60, 4, s50                                      // 000000004498: 923C3284
	s_mul_i32 s60, s46, s60                                    // 00000000449C: 923C3C2E
	v_add_u32_e32 v7, s60, v7                                  // 0000000044A0: 680E0E3C
	v_lshlrev_b32_e32 v7, 2, v7                                // 0000000044A4: 240E0E82
	v_mul_i32_i24_e32 v29, 2, v29                              // 0000000044A8: 0C3A3A82
	v_add_u32_e32 v8, v29, v7                                  // 0000000044AC: 68100F1D
	s_mul_i32 s72, s50, s65                                    // 0000000044B0: 92484132
	s_mul_hi_u32 s62, s50, s65                                 // 0000000044B4: 963E4132
	s_and_b32 s62, s62, 0xffff                                 // 0000000044B8: 863EFF3E 0000FFFF
	s_add_u32 s32, s72, s32                                    // 0000000044C0: 80202048
	s_addc_u32 s33, s62, s33                                   // 0000000044C4: 8221213E
	s_mul_i32 s60, s50, s81                                    // 0000000044C8: 923C5132
	s_lshl_b32 s60, s60, 2                                     // 0000000044CC: 8E3C823C
	s_mov_b32 s34, s60                                         // 0000000044D0: BEA2003C
	s_mul_i32 s60, 3, s2                                       // 0000000044D4: 923C0283
	s_add_u32 s61, s83, 63                                     // 0000000044D8: 803DBF53
	s_lshr_b32 s61, s61, 6                                     // 0000000044DC: 8F3D863D
	s_sub_i32 s73, s61, s60                                    // 0000000044E0: 81C93C3D
	s_cmp_lt_i32 s73, 3                                        // 0000000044E4: BF048349
	s_cselect_b32 s73, s73, 3                                  // 0000000044E8: 85498349
	v_mov_b32_e32 v249, 0xffff0000                             // 0000000044EC: 7FF202FF FFFF0000
	v_mov_b32_e32 v250, 0x7fff0000                             // 0000000044F4: 7FF402FF 7FFF0000
	v_mov_b32_e32 v251, 0x7fff                                 // 0000000044FC: 7FF602FF 00007FFF
	s_mul_i32 s60, 0xc0, s2                                    // 000000004504: 923C02FF 000000C0
	s_sub_i32 s81, s83, s60                                    // 00000000450C: 81D13C53
	s_lshr_b32 s60, s46, 1                                     // 000000004510: 8F3C812E
	s_lshl_b32 s60, s60, 8                                     // 000000004514: 8E3C883C
	s_add_u32 s76, 0xc600, s60                                 // 000000004518: 804C3CFF 0000C600
	s_add_u32 s77, 0x200, s76                                  // 000000004520: 804D4CFF 00000200
	s_mov_b32 m0, s76                                          // 000000004528: BEFC004C
	v_lshrrev_b32_e32 v28, 2, v0                               // 00000000452C: 20380082
	v_and_b32_e32 v29, 3, v28                                  // 000000004530: 263A3883
	v_lshrrev_b32_e32 v30, 3, v28                              // 000000004534: 203C3883
	v_lshlrev_b32_e32 v30, 2, v30                              // 000000004538: 243C3C82
	v_add_u32_e32 v28, v30, v29                                // 00000000453C: 68383B1E
	s_lshr_b32 s60, s46, 1                                     // 000000004540: 8F3C812E
	s_sub_i32 s60, 1, s60                                      // 000000004544: 81BC3C81
	v_mul_i32_i24_e64 v29, s60, 8                              // 000000004548: D106001D 0001103C
	v_mov_b32_e32 v30, s50                                     // 000000004550: 7E3C0232
	v_sub_u32_e64 v30, v30, 64                                 // 000000004554: D135001E 0001811E
	v_lshrrev_b32_e32 v30, 3, v30                              // 00000000455C: 203C3C83
	v_add_u32_e32 v29, v30, v29                                // 000000004560: 683A3B1E
	v_cmp_lt_u32_e64 s[78:79], v28, v29                        // 000000004564: D0C9004E 00023B1C
	s_mov_b32 s84, -1                                          // 00000000456C: BED400C1
	s_mov_b32 s85, -1                                          // 000000004570: BED500C1
	v_and_b32_e32 v28, 15, v0                                  // 000000004574: 2638008F
	v_mov_b32_e32 v29, s50                                     // 000000004578: 7E3A0232
	v_lshrrev_b32_e32 v29, 3, v29                              // 00000000457C: 203A3A83
	v_cmp_lt_u32_e64 s[88:89], v28, v29                        // 000000004580: D0C90058 00023B1C
	v_and_b32_e32 v28, 31, v0                                  // 000000004588: 2638009F
	v_lshrrev_b32_e32 v28, 1, v28                              // 00000000458C: 20383881
	v_and_b32_e32 v29, 1, v28                                  // 000000004590: 263A3881
	v_lshlrev_b32_e32 v29, 4, v29                              // 000000004594: 243A3A84
	v_and_b32_e32 v30, 2, v28                                  // 000000004598: 263C3882
	v_lshlrev_b32_e32 v30, 2, v30                              // 00000000459C: 243C3C82
	v_add_u32_e32 v29, v30, v29                                // 0000000045A0: 683A3B1E
	v_and_b32_e32 v30, 12, v28                                 // 0000000045A4: 263C388C
	v_lshrrev_b32_e32 v30, 1, v30                              // 0000000045A8: 203C3C81
	v_add_u32_e32 v29, v30, v29                                // 0000000045AC: 683A3B1E
	v_lshrrev_b32_e32 v28, 5, v0                               // 0000000045B0: 20380085
	v_mul_i32_i24_e32 v30, 0x80, v28                           // 0000000045B4: 0C3C38FF 00000080
	v_add_u32_e32 v29, v30, v29                                // 0000000045BC: 683A3B1E
	v_and_b32_e32 v30, 1, v0                                   // 0000000045C0: 263C0081
	v_add_u32_e32 v11, v30, v29                                // 0000000045C4: 68163B1E
	s_and_b32 s60, 1, s46                                      // 0000000045C8: 863C2E81
	s_mul_i32 s60, s60, 64                                     // 0000000045CC: 923CC03C
	s_lshr_b32 s61, s46, 1                                     // 0000000045D0: 8F3D812E
	s_mul_i32 s61, s61, 0x220                                  // 0000000045D4: 923DFF3D 00000220
	s_add_u32 s60, s60, s61                                    // 0000000045DC: 803C3D3C
	v_add_u32_e32 v11, s60, v11                                // 0000000045E0: 6816163C
	v_lshlrev_b32_e32 v11, 2, v11                              // 0000000045E4: 24161682
	v_lshrrev_b32_e32 v28, 4, v0                               // 0000000045E8: 20380084
	v_and_b32_e32 v29, 1, v28                                  // 0000000045EC: 263A3881
	v_lshlrev_b32_e32 v29, 4, v29                              // 0000000045F0: 243A3A84
	v_and_b32_e32 v30, 2, v28                                  // 0000000045F4: 263C3882
	v_mul_i32_i24_e32 v30, 4, v30                              // 0000000045F8: 0C3C3C84
	v_add_u32_e32 v29, v30, v29                                // 0000000045FC: 683A3B1E
	v_and_b32_e32 v28, 15, v0                                  // 000000004600: 2638008F
	v_lshrrev_b32_e32 v30, 2, v28                              // 000000004604: 203C3882
	v_lshlrev_b32_e32 v30, 5, v30                              // 000000004608: 243C3C85
	v_add_u32_e32 v29, v30, v29                                // 00000000460C: 683A3B1E
	v_and_b32_e32 v28, 3, v0                                   // 000000004610: 26380083
	v_and_b32_e32 v30, 1, v28                                  // 000000004614: 263C3881
	v_mul_i32_i24_e32 v30, 0x108, v30                          // 000000004618: 0C3C3CFF 00000108
	v_add_u32_e32 v29, v30, v29                                // 000000004620: 683A3B1E
	v_and_b32_e32 v30, 2, v28                                  // 000000004624: 263C3882
	v_lshlrev_b32_e32 v30, 1, v30                              // 000000004628: 243C3C81
	v_add_u32_e32 v10, v30, v29                                // 00000000462C: 68143B1E
	v_lshlrev_b32_e32 v10, 2, v10                              // 000000004630: 24141482
	s_mul_i32 s60, s46, 0x1100                                 // 000000004634: 923CFF2E 00001100
	v_add_u32_e32 v22, s60, v10                                // 00000000463C: 682C143C
	v_lshrrev_b32_e32 v28, 5, v0                               // 000000004640: 20380085
	v_mul_i32_i24_e32 v13, 0x80, v28                           // 000000004644: 0C1A38FF 00000080
	v_and_b32_e32 v28, 31, v0                                  // 00000000464C: 2638009F
	v_and_b32_e32 v29, 7, v28                                  // 000000004650: 263A3887
	v_and_b32_e32 v30, 1, v29                                  // 000000004654: 263C3A81
	v_lshlrev_b32_e32 v30, 2, v30                              // 000000004658: 243C3C82
	v_add_u32_e32 v13, v30, v13                                // 00000000465C: 681A1B1E
	v_and_b32_e32 v30, 2, v29                                  // 000000004660: 263C3A82
	v_lshlrev_b32_e32 v30, 3, v30                              // 000000004664: 243C3C83
	v_add_u32_e32 v13, v30, v13                                // 000000004668: 681A1B1E
	v_and_b32_e32 v30, 4, v29                                  // 00000000466C: 263C3A84
	v_lshlrev_b32_e32 v30, 1, v30                              // 000000004670: 243C3C81
	v_add_u32_e32 v13, v30, v13                                // 000000004674: 681A1B1E
	v_lshrrev_b32_e32 v29, 3, v28                              // 000000004678: 203A3883
	v_and_b32_e32 v30, 1, v29                                  // 00000000467C: 263C3A81
	v_lshlrev_b32_e32 v30, 1, v30                              // 000000004680: 243C3C81
	v_add_u32_e32 v13, v30, v13                                // 000000004684: 681A1B1E
	v_and_b32_e32 v30, 2, v29                                  // 000000004688: 263C3A82
	v_lshrrev_b32_e32 v30, 1, v30                              // 00000000468C: 203C3C81
	v_add_u32_e32 v13, v30, v13                                // 000000004690: 681A1B1E
	s_and_b32 s60, 1, s46                                      // 000000004694: 863C2E81
	s_mul_i32 s60, s60, 64                                     // 000000004698: 923CC03C
	s_lshr_b32 s61, s46, 1                                     // 00000000469C: 8F3D812E
	s_mul_i32 s61, s61, 0x220                                  // 0000000046A0: 923DFF3D 00000220
	s_add_u32 s60, s60, s61                                    // 0000000046A8: 803C3D3C
	v_add_u32_e32 v13, s60, v13                                // 0000000046AC: 681A1A3C
	v_lshlrev_b32_e32 v13, 2, v13                              // 0000000046B0: 241A1A82
	v_and_b32_e32 v28, 15, v0                                  // 0000000046B4: 2638008F
	v_and_b32_e32 v30, 1, v28                                  // 0000000046B8: 263C3881
	v_mul_i32_i24_e32 v12, 0x108, v30                          // 0000000046BC: 0C183CFF 00000108
	v_and_b32_e32 v30, 2, v28                                  // 0000000046C4: 263C3882
	v_lshlrev_b32_e32 v30, 1, v30                              // 0000000046C8: 243C3C81
	v_add_u32_e32 v12, v30, v12                                // 0000000046CC: 6818191E
	v_and_b32_e32 v30, 4, v28                                  // 0000000046D0: 263C3884
	v_lshlrev_b32_e32 v30, 2, v30                              // 0000000046D4: 243C3C82
	v_add_u32_e32 v12, v30, v12                                // 0000000046D8: 6818191E
	v_and_b32_e32 v30, 8, v28                                  // 0000000046DC: 263C3888
	v_add_u32_e32 v12, v30, v12                                // 0000000046E0: 6818191E
	v_lshrrev_b32_e32 v28, 4, v0                               // 0000000046E4: 20380084
	v_and_b32_e32 v30, 1, v28                                  // 0000000046E8: 263C3881
	v_lshlrev_b32_e32 v30, 5, v30                              // 0000000046EC: 243C3C85
	v_add_u32_e32 v12, v30, v12                                // 0000000046F0: 6818191E
	v_and_b32_e32 v29, 2, v28                                  // 0000000046F4: 263A3882
	v_mul_i32_i24_e32 v30, 32, v29                             // 0000000046F8: 0C3C3AA0
	v_mul_i32_i24_e32 v29, 0x220, v29                          // 0000000046FC: 0C3A3AFF 00000220
	v_add_u32_e32 v23, v29, v12                                // 000000004704: 682E191D
	v_add_u32_e32 v12, v30, v12                                // 000000004708: 6818191E
	v_lshlrev_b32_e32 v12, 2, v12                              // 00000000470C: 24181882
	v_lshlrev_b32_e32 v23, 2, v23                              // 000000004710: 242E2E82
	s_and_b32 s60, 1, s46                                      // 000000004714: 863C2E81
	s_mul_i32 s60, s60, 0x200                                  // 000000004718: 923CFF3C 00000200
	s_lshr_b32 s61, s46, 1                                     // 000000004720: 8F3D812E
	s_mul_i32 s61, s61, 0x880                                  // 000000004724: 923DFF3D 00000880
	s_add_u32 s60, s60, s61                                    // 00000000472C: 803C3D3C
	v_add_u32_e32 v23, s60, v23                                // 000000004730: 682E2E3C
	v_lshrrev_b32_e32 v28, 4, v0                               // 000000004734: 20380084
	v_mul_i32_i24_e32 v21, 4, v28                              // 000000004738: 0C2A3884
	v_and_b32_e32 v29, 3, v0                                   // 00000000473C: 263A0083
	v_add_u32_e32 v21, v29, v21                                // 000000004740: 682A2B1D
	v_lshlrev_b32_e32 v21, 2, v21                              // 000000004744: 242A2A82
	v_lshrrev_b32_e32 v28, 4, v0                               // 000000004748: 20380084
	v_and_b32_e32 v29, 1, v28                                  // 00000000474C: 263A3881
	v_mul_i32_i24_e32 v19, 0x100, v29                          // 000000004750: 0C263AFF 00000100
	v_and_b32_e32 v29, 2, v28                                  // 000000004758: 263A3882
	v_mul_i32_i24_e32 v29, 64, v29                             // 00000000475C: 0C3A3AC0
	v_add_u32_e32 v19, v29, v19                                // 000000004760: 6826271D
	v_and_b32_e32 v28, 15, v0                                  // 000000004764: 2638008F
	v_mul_i32_i24_e32 v29, 2, v28                              // 000000004768: 0C3A3882
	v_add_u32_e32 v19, v29, v19                                // 00000000476C: 6826271D
	s_mul_i32 s60, s46, 32                                     // 000000004770: 923CA02E
	v_add_u32_e32 v19, s60, v19                                // 000000004774: 6826263C
	v_lshlrev_b32_e32 v19, 2, v19                              // 000000004778: 24262682
	v_lshlrev_b32_e32 v20, 1, v0                               // 00000000477C: 24280081
	s_mul_i32 s60, s46, 0x200                                  // 000000004780: 923CFF2E 00000200
	v_add_u32_e32 v20, s60, v20                                // 000000004788: 6828283C
	v_lshlrev_b32_e32 v20, 2, v20                              // 00000000478C: 24282882
	v_lshrrev_b32_e32 v28, 5, v0                               // 000000004790: 20380085
	v_mul_i32_i24_e32 v17, 64, v28                             // 000000004794: 0C2238C0
	v_and_b32_e32 v28, 31, v0                                  // 000000004798: 2638009F
	v_and_b32_e32 v28, 3, v28                                  // 00000000479C: 26383883
	v_and_b32_e32 v29, 1, v28                                  // 0000000047A0: 263A3881
	v_mul_i32_i24_e32 v29, 4, v29                              // 0000000047A4: 0C3A3A84
	v_add_u32_e32 v17, v29, v17                                // 0000000047A8: 6822231D
	v_and_b32_e32 v29, 2, v28                                  // 0000000047AC: 263A3882
	v_mul_i32_i24_e32 v29, 0x44, v29                           // 0000000047B0: 0C3A3AFF 00000044
	v_add_u32_e32 v17, v29, v17                                // 0000000047B8: 6822231D
	v_and_b32_e32 v28, 31, v0                                  // 0000000047BC: 2638009F
	v_lshrrev_b32_e32 v28, 2, v28                              // 0000000047C0: 20383882
	v_lshrrev_b32_e32 v30, 2, v28                              // 0000000047C4: 203C3882
	v_mul_i32_i24_e32 v29, 16, v30                             // 0000000047C8: 0C3A3C90
	v_add_u32_e32 v17, v29, v17                                // 0000000047CC: 6822231D
	v_and_b32_e32 v29, 2, v28                                  // 0000000047D0: 263A3882
	v_lshlrev_b32_e32 v29, 4, v29                              // 0000000047D4: 243A3A84
	v_add_u32_e32 v17, v29, v17                                // 0000000047D8: 6822231D
	v_and_b32_e32 v29, 1, v28                                  // 0000000047DC: 263A3881
	v_xor_b32_e32 v29, v30, v29                                // 0000000047E0: 2A3A3B1E
	v_mul_i32_i24_e32 v29, 8, v29                              // 0000000047E4: 0C3A3A88
	v_add_u32_e32 v17, v29, v17                                // 0000000047E8: 6822231D
	v_lshlrev_b32_e32 v17, 2, v17                              // 0000000047EC: 24222282
	v_lshrrev_b32_e32 v28, 5, v0                               // 0000000047F0: 20380085
	v_mul_i32_i24_e32 v18, 32, v28                             // 0000000047F4: 0C2438A0
	v_and_b32_e32 v28, 31, v0                                  // 0000000047F8: 2638009F
	v_and_b32_e32 v28, 3, v28                                  // 0000000047FC: 26383883
	v_and_b32_e32 v29, 1, v28                                  // 000000004800: 263A3881
	v_mul_i32_i24_e32 v29, 4, v29                              // 000000004804: 0C3A3A84
	v_add_u32_e32 v18, v29, v18                                // 000000004808: 6824251D
	v_and_b32_e32 v29, 2, v28                                  // 00000000480C: 263A3882
	v_lshrrev_b32_e32 v29, 1, v29                              // 000000004810: 203A3A81
	v_add_u32_e32 v18, v29, v18                                // 000000004814: 6824251D
	v_and_b32_e32 v28, 31, v0                                  // 000000004818: 2638009F
	v_lshrrev_b32_e32 v28, 2, v28                              // 00000000481C: 20383882
	v_and_b32_e32 v30, 1, v28                                  // 000000004820: 263C3881
	v_mul_i32_i24_e32 v29, 16, v30                             // 000000004824: 0C3A3C90
	v_add_u32_e32 v18, v29, v18                                // 000000004828: 6824251D
	v_and_b32_e32 v29, 2, v28                                  // 00000000482C: 263A3882
	v_add_u32_e32 v18, v29, v18                                // 000000004830: 6824251D
	v_lshrrev_b32_e32 v29, 2, v28                              // 000000004834: 203A3882
	v_xor_b32_e32 v29, v30, v29                                // 000000004838: 2A3A3B1E
	v_mul_i32_i24_e32 v29, 8, v29                              // 00000000483C: 0C3A3A88
	v_add_u32_e32 v18, v29, v18                                // 000000004840: 6824251D
	s_and_b32 s60, 1, s46                                      // 000000004844: 863C2E81
	s_mul_i32 s60, s60, 64                                     // 000000004848: 923CC03C
	s_lshr_b32 s61, s46, 1                                     // 00000000484C: 8F3D812E
	s_mul_i32 s61, s61, 0x120                                  // 000000004850: 923DFF3D 00000120
	s_add_u32 s60, s60, s61                                    // 000000004858: 803C3D3C
	v_add_u32_e32 v18, s60, v18                                // 00000000485C: 6824243C
	v_lshlrev_b32_e32 v18, 2, v18                              // 000000004860: 24242482
	v_mov_b32_e32 v152, 0                                      // 000000004864: 7F300280
	s_mov_b64 exec, s[78:79]                                   // 000000004868: BEFE014E
	buffer_load_dword v152, v1, s[12:15], 0 idxen              // 00000000486C: E0502000 80039801
	s_mov_b64 exec, s[84:85]                                   // 000000004874: BEFE0154
	v_mov_b32_e32 v153, 0                                      // 000000004878: 7F320280
	s_mov_b64 exec, s[78:79]                                   // 00000000487C: BEFE014E
	buffer_load_dword v153, v2, s[12:15], 0 idxen              // 000000004880: E0502000 80039902
	s_mov_b64 exec, s[84:85]                                   // 000000004888: BEFE0154
	v_mov_b32_e32 v154, 0                                      // 00000000488C: 7F340280
	s_mov_b64 exec, s[78:79]                                   // 000000004890: BEFE014E
	buffer_load_dword v154, v3, s[12:15], 0 idxen              // 000000004894: E0502000 80039A03
	s_mov_b64 exec, s[84:85]                                   // 00000000489C: BEFE0154
	v_mov_b32_e32 v155, 0                                      // 0000000048A0: 7F360280
	s_mov_b64 exec, s[78:79]                                   // 0000000048A4: BEFE014E
	buffer_load_dword v155, v4, s[12:15], 0 idxen              // 0000000048A8: E0502000 80039B04
	s_mov_b64 exec, s[84:85]                                   // 0000000048B0: BEFE0154
	s_mul_i32 s60, 4, s6                                       // 0000000048B4: 923C0684
	s_cmp_lt_i32 0, s73                                        // 0000000048B8: BF044980
	s_cselect_b32 s60, s60, 0                                  // 0000000048BC: 853C803C
	v_add_u32_e32 v1, s60, v1                                  // 0000000048C0: 6802023C
	v_add_u32_e32 v2, s60, v2                                  // 0000000048C4: 6804043C
	v_add_u32_e32 v3, s60, v3                                  // 0000000048C8: 6806063C
	v_add_u32_e32 v4, s60, v4                                  // 0000000048CC: 6808083C
	v_mov_b32_e32 v156, 0                                      // 0000000048D0: 7F380280
	s_mov_b64 exec, s[78:79]                                   // 0000000048D4: BEFE014E
	buffer_load_dword v156, v1, s[12:15], 0 idxen              // 0000000048D8: E0502000 80039C01
	s_mov_b64 exec, s[84:85]                                   // 0000000048E0: BEFE0154
	v_mov_b32_e32 v157, 0                                      // 0000000048E4: 7F3A0280
	s_mov_b64 exec, s[78:79]                                   // 0000000048E8: BEFE014E
	buffer_load_dword v157, v2, s[12:15], 0 idxen              // 0000000048EC: E0502000 80039D02
	s_mov_b64 exec, s[84:85]                                   // 0000000048F4: BEFE0154
	v_mov_b32_e32 v158, 0                                      // 0000000048F8: 7F3C0280
	s_mov_b64 exec, s[78:79]                                   // 0000000048FC: BEFE014E
	buffer_load_dword v158, v3, s[12:15], 0 idxen              // 000000004900: E0502000 80039E03
	s_mov_b64 exec, s[84:85]                                   // 000000004908: BEFE0154
	v_mov_b32_e32 v159, 0                                      // 00000000490C: 7F3E0280
	s_mov_b64 exec, s[78:79]                                   // 000000004910: BEFE014E
	buffer_load_dword v159, v4, s[12:15], 0 idxen              // 000000004914: E0502000 80039F04
	s_mov_b64 exec, s[84:85]                                   // 00000000491C: BEFE0154
	s_mul_i32 s60, 4, s6                                       // 000000004920: 923C0684
	s_cmp_lt_i32 0, s73                                        // 000000004924: BF044980
	s_cselect_b32 s60, s60, 0                                  // 000000004928: 853C803C
	v_add_u32_e32 v1, s60, v1                                  // 00000000492C: 6802023C
	v_add_u32_e32 v2, s60, v2                                  // 000000004930: 6804043C
	v_add_u32_e32 v3, s60, v3                                  // 000000004934: 6806063C
	v_add_u32_e32 v4, s60, v4                                  // 000000004938: 6808083C
	v_mov_b32_e32 v160, 0                                      // 00000000493C: 7F400280
	s_mov_b64 exec, s[78:79]                                   // 000000004940: BEFE014E
	buffer_load_dword v160, v1, s[12:15], 0 idxen              // 000000004944: E0502000 8003A001
	s_mov_b64 exec, s[84:85]                                   // 00000000494C: BEFE0154
	v_mov_b32_e32 v161, 0                                      // 000000004950: 7F420280
	s_mov_b64 exec, s[78:79]                                   // 000000004954: BEFE014E
	buffer_load_dword v161, v2, s[12:15], 0 idxen              // 000000004958: E0502000 8003A102
	s_mov_b64 exec, s[84:85]                                   // 000000004960: BEFE0154
	v_mov_b32_e32 v162, 0                                      // 000000004964: 7F440280
	s_mov_b64 exec, s[78:79]                                   // 000000004968: BEFE014E
	buffer_load_dword v162, v3, s[12:15], 0 idxen              // 00000000496C: E0502000 8003A203
	s_mov_b64 exec, s[84:85]                                   // 000000004974: BEFE0154
	v_mov_b32_e32 v163, 0                                      // 000000004978: 7F460280
	s_mov_b64 exec, s[78:79]                                   // 00000000497C: BEFE014E
	buffer_load_dword v163, v4, s[12:15], 0 idxen              // 000000004980: E0502000 8003A304
	s_mov_b64 exec, s[84:85]                                   // 000000004988: BEFE0154
	s_mul_i32 s60, 4, s6                                       // 00000000498C: 923C0684
	s_cmp_lt_i32 0, s73                                        // 000000004990: BF044980
	s_cselect_b32 s60, s60, 0                                  // 000000004994: 853C803C
	v_add_u32_e32 v1, s60, v1                                  // 000000004998: 6802023C
	v_add_u32_e32 v2, s60, v2                                  // 00000000499C: 6804043C
	v_add_u32_e32 v3, s60, v3                                  // 0000000049A0: 6806063C
	v_add_u32_e32 v4, s60, v4                                  // 0000000049A4: 6808083C
	v_mov_b32_e32 v164, 0                                      // 0000000049A8: 7F480280
	s_mov_b64 exec, s[78:79]                                   // 0000000049AC: BEFE014E
	buffer_load_dword v164, v1, s[12:15], 0 idxen              // 0000000049B0: E0502000 8003A401
	s_mov_b64 exec, s[84:85]                                   // 0000000049B8: BEFE0154
	v_mov_b32_e32 v165, 0                                      // 0000000049BC: 7F4A0280
	s_mov_b64 exec, s[78:79]                                   // 0000000049C0: BEFE014E
	buffer_load_dword v165, v2, s[12:15], 0 idxen              // 0000000049C4: E0502000 8003A502
	s_mov_b64 exec, s[84:85]                                   // 0000000049CC: BEFE0154
	v_mov_b32_e32 v166, 0                                      // 0000000049D0: 7F4C0280
	s_mov_b64 exec, s[78:79]                                   // 0000000049D4: BEFE014E
	buffer_load_dword v166, v3, s[12:15], 0 idxen              // 0000000049D8: E0502000 8003A603
	s_mov_b64 exec, s[84:85]                                   // 0000000049E0: BEFE0154
	v_mov_b32_e32 v167, 0                                      // 0000000049E4: 7F4E0280
	s_mov_b64 exec, s[78:79]                                   // 0000000049E8: BEFE014E
	buffer_load_dword v167, v4, s[12:15], 0 idxen              // 0000000049EC: E0502000 8003A704
	s_mov_b64 exec, s[84:85]                                   // 0000000049F4: BEFE0154
	s_mul_i32 s60, 4, s6                                       // 0000000049F8: 923C0684
	s_cmp_lt_i32 1, s73                                        // 0000000049FC: BF044981
	s_cselect_b32 s60, s60, 0                                  // 000000004A00: 853C803C
	v_add_u32_e32 v1, s60, v1                                  // 000000004A04: 6802023C
	v_add_u32_e32 v2, s60, v2                                  // 000000004A08: 6804043C
	v_add_u32_e32 v3, s60, v3                                  // 000000004A0C: 6806063C
	v_add_u32_e32 v4, s60, v4                                  // 000000004A10: 6808083C
	v_mov_b32_e32 v168, 0                                      // 000000004A14: 7F500280
	s_mov_b64 exec, s[78:79]                                   // 000000004A18: BEFE014E
	buffer_load_dword v168, v1, s[12:15], 0 idxen              // 000000004A1C: E0502000 8003A801
	s_mov_b64 exec, s[84:85]                                   // 000000004A24: BEFE0154
	v_mov_b32_e32 v169, 0                                      // 000000004A28: 7F520280
	s_mov_b64 exec, s[78:79]                                   // 000000004A2C: BEFE014E
	buffer_load_dword v169, v2, s[12:15], 0 idxen              // 000000004A30: E0502000 8003A902
	s_mov_b64 exec, s[84:85]                                   // 000000004A38: BEFE0154
	v_mov_b32_e32 v170, 0                                      // 000000004A3C: 7F540280
	s_mov_b64 exec, s[78:79]                                   // 000000004A40: BEFE014E
	buffer_load_dword v170, v3, s[12:15], 0 idxen              // 000000004A44: E0502000 8003AA03
	s_mov_b64 exec, s[84:85]                                   // 000000004A4C: BEFE0154
	v_mov_b32_e32 v171, 0                                      // 000000004A50: 7F560280
	s_mov_b64 exec, s[78:79]                                   // 000000004A54: BEFE014E
	buffer_load_dword v171, v4, s[12:15], 0 idxen              // 000000004A58: E0502000 8003AB04
	s_mov_b64 exec, s[84:85]                                   // 000000004A60: BEFE0154
	s_mul_i32 s60, 4, s6                                       // 000000004A64: 923C0684
	s_cmp_lt_i32 1, s73                                        // 000000004A68: BF044981
	s_cselect_b32 s60, s60, 0                                  // 000000004A6C: 853C803C
	v_add_u32_e32 v1, s60, v1                                  // 000000004A70: 6802023C
	v_add_u32_e32 v2, s60, v2                                  // 000000004A74: 6804043C
	v_add_u32_e32 v3, s60, v3                                  // 000000004A78: 6806063C
	v_add_u32_e32 v4, s60, v4                                  // 000000004A7C: 6808083C
	v_mov_b32_e32 v172, 0                                      // 000000004A80: 7F580280
	s_mov_b64 exec, s[78:79]                                   // 000000004A84: BEFE014E
	buffer_load_dword v172, v1, s[12:15], 0 idxen              // 000000004A88: E0502000 8003AC01
	s_mov_b64 exec, s[84:85]                                   // 000000004A90: BEFE0154
	v_mov_b32_e32 v173, 0                                      // 000000004A94: 7F5A0280
	s_mov_b64 exec, s[78:79]                                   // 000000004A98: BEFE014E
	buffer_load_dword v173, v2, s[12:15], 0 idxen              // 000000004A9C: E0502000 8003AD02
	s_mov_b64 exec, s[84:85]                                   // 000000004AA4: BEFE0154
	v_mov_b32_e32 v174, 0                                      // 000000004AA8: 7F5C0280
	s_mov_b64 exec, s[78:79]                                   // 000000004AAC: BEFE014E
	buffer_load_dword v174, v3, s[12:15], 0 idxen              // 000000004AB0: E0502000 8003AE03
	s_mov_b64 exec, s[84:85]                                   // 000000004AB8: BEFE0154
	v_mov_b32_e32 v175, 0                                      // 000000004ABC: 7F5E0280
	s_mov_b64 exec, s[78:79]                                   // 000000004AC0: BEFE014E
	buffer_load_dword v175, v4, s[12:15], 0 idxen              // 000000004AC4: E0502000 8003AF04
	s_mov_b64 exec, s[84:85]                                   // 000000004ACC: BEFE0154
	s_mul_i32 s60, 4, s6                                       // 000000004AD0: 923C0684
	s_cmp_lt_i32 1, s73                                        // 000000004AD4: BF044981
	s_cselect_b32 s60, s60, 0                                  // 000000004AD8: 853C803C
	v_add_u32_e32 v1, s60, v1                                  // 000000004ADC: 6802023C
	v_add_u32_e32 v2, s60, v2                                  // 000000004AE0: 6804043C
	v_add_u32_e32 v3, s60, v3                                  // 000000004AE4: 6806063C
	v_add_u32_e32 v4, s60, v4                                  // 000000004AE8: 6808083C
	v_mov_b32_e32 v176, 0                                      // 000000004AEC: 7F600280
	s_mov_b64 exec, s[78:79]                                   // 000000004AF0: BEFE014E
	buffer_load_dword v176, v1, s[12:15], 0 idxen              // 000000004AF4: E0502000 8003B001
	s_mov_b64 exec, s[84:85]                                   // 000000004AFC: BEFE0154
	v_mov_b32_e32 v177, 0                                      // 000000004B00: 7F620280
	s_mov_b64 exec, s[78:79]                                   // 000000004B04: BEFE014E
	buffer_load_dword v177, v2, s[12:15], 0 idxen              // 000000004B08: E0502000 8003B102
	s_mov_b64 exec, s[84:85]                                   // 000000004B10: BEFE0154
	v_mov_b32_e32 v178, 0                                      // 000000004B14: 7F640280
	s_mov_b64 exec, s[78:79]                                   // 000000004B18: BEFE014E
	buffer_load_dword v178, v3, s[12:15], 0 idxen              // 000000004B1C: E0502000 8003B203
	s_mov_b64 exec, s[84:85]                                   // 000000004B24: BEFE0154
	v_mov_b32_e32 v179, 0                                      // 000000004B28: 7F660280
	s_mov_b64 exec, s[78:79]                                   // 000000004B2C: BEFE014E
	buffer_load_dword v179, v4, s[12:15], 0 idxen              // 000000004B30: E0502000 8003B304
	s_mov_b64 exec, s[84:85]                                   // 000000004B38: BEFE0154
	s_mul_i32 s60, 4, s6                                       // 000000004B3C: 923C0684
	s_cmp_lt_i32 1, s73                                        // 000000004B40: BF044981
	s_cselect_b32 s60, s60, 0                                  // 000000004B44: 853C803C
	v_add_u32_e32 v1, s60, v1                                  // 000000004B48: 6802023C
	v_add_u32_e32 v2, s60, v2                                  // 000000004B4C: 6804043C
	v_add_u32_e32 v3, s60, v3                                  // 000000004B50: 6806063C
	v_add_u32_e32 v4, s60, v4                                  // 000000004B54: 6808083C
	v_mov_b32_e32 v180, 0                                      // 000000004B58: 7F680280
	s_mov_b64 exec, s[78:79]                                   // 000000004B5C: BEFE014E
	buffer_load_dword v180, v1, s[12:15], 0 idxen              // 000000004B60: E0502000 8003B401
	s_mov_b64 exec, s[84:85]                                   // 000000004B68: BEFE0154
	v_mov_b32_e32 v181, 0                                      // 000000004B6C: 7F6A0280
	s_mov_b64 exec, s[78:79]                                   // 000000004B70: BEFE014E
	buffer_load_dword v181, v2, s[12:15], 0 idxen              // 000000004B74: E0502000 8003B502
	s_mov_b64 exec, s[84:85]                                   // 000000004B7C: BEFE0154
	v_mov_b32_e32 v182, 0                                      // 000000004B80: 7F6C0280
	s_mov_b64 exec, s[78:79]                                   // 000000004B84: BEFE014E
	buffer_load_dword v182, v3, s[12:15], 0 idxen              // 000000004B88: E0502000 8003B603
	s_mov_b64 exec, s[84:85]                                   // 000000004B90: BEFE0154
	v_mov_b32_e32 v183, 0                                      // 000000004B94: 7F6E0280
	s_mov_b64 exec, s[78:79]                                   // 000000004B98: BEFE014E
	buffer_load_dword v183, v4, s[12:15], 0 idxen              // 000000004B9C: E0502000 8003B704
	s_mov_b64 exec, s[84:85]                                   // 000000004BA4: BEFE0154
	s_mul_i32 s60, 4, s6                                       // 000000004BA8: 923C0684
	s_cmp_lt_i32 2, s73                                        // 000000004BAC: BF044982
	s_cselect_b32 s60, s60, 0                                  // 000000004BB0: 853C803C
	v_add_u32_e32 v1, s60, v1                                  // 000000004BB4: 6802023C
	v_add_u32_e32 v2, s60, v2                                  // 000000004BB8: 6804043C
	v_add_u32_e32 v3, s60, v3                                  // 000000004BBC: 6806063C
	v_add_u32_e32 v4, s60, v4                                  // 000000004BC0: 6808083C
	v_mov_b32_e32 v184, 0                                      // 000000004BC4: 7F700280
	s_mov_b64 exec, s[78:79]                                   // 000000004BC8: BEFE014E
	buffer_load_dword v184, v1, s[12:15], 0 idxen              // 000000004BCC: E0502000 8003B801
	s_mov_b64 exec, s[84:85]                                   // 000000004BD4: BEFE0154
	v_mov_b32_e32 v185, 0                                      // 000000004BD8: 7F720280
	s_mov_b64 exec, s[78:79]                                   // 000000004BDC: BEFE014E
	buffer_load_dword v185, v2, s[12:15], 0 idxen              // 000000004BE0: E0502000 8003B902
	s_mov_b64 exec, s[84:85]                                   // 000000004BE8: BEFE0154
	v_mov_b32_e32 v186, 0                                      // 000000004BEC: 7F740280
	s_mov_b64 exec, s[78:79]                                   // 000000004BF0: BEFE014E
	buffer_load_dword v186, v3, s[12:15], 0 idxen              // 000000004BF4: E0502000 8003BA03
	s_mov_b64 exec, s[84:85]                                   // 000000004BFC: BEFE0154
	v_mov_b32_e32 v187, 0                                      // 000000004C00: 7F760280
	s_mov_b64 exec, s[78:79]                                   // 000000004C04: BEFE014E
	buffer_load_dword v187, v4, s[12:15], 0 idxen              // 000000004C08: E0502000 8003BB04
	s_mov_b64 exec, s[84:85]                                   // 000000004C10: BEFE0154
	s_mul_i32 s60, 4, s6                                       // 000000004C14: 923C0684
	s_cmp_lt_i32 2, s73                                        // 000000004C18: BF044982
	s_cselect_b32 s60, s60, 0                                  // 000000004C1C: 853C803C
	v_add_u32_e32 v1, s60, v1                                  // 000000004C20: 6802023C
	v_add_u32_e32 v2, s60, v2                                  // 000000004C24: 6804043C
	v_add_u32_e32 v3, s60, v3                                  // 000000004C28: 6806063C
	v_add_u32_e32 v4, s60, v4                                  // 000000004C2C: 6808083C
	v_mov_b32_e32 v188, 0                                      // 000000004C30: 7F780280
	s_mov_b64 exec, s[78:79]                                   // 000000004C34: BEFE014E
	buffer_load_dword v188, v1, s[12:15], 0 idxen              // 000000004C38: E0502000 8003BC01
	s_mov_b64 exec, s[84:85]                                   // 000000004C40: BEFE0154
	v_mov_b32_e32 v189, 0                                      // 000000004C44: 7F7A0280
	s_mov_b64 exec, s[78:79]                                   // 000000004C48: BEFE014E
	buffer_load_dword v189, v2, s[12:15], 0 idxen              // 000000004C4C: E0502000 8003BD02
	s_mov_b64 exec, s[84:85]                                   // 000000004C54: BEFE0154
	v_mov_b32_e32 v190, 0                                      // 000000004C58: 7F7C0280
	s_mov_b64 exec, s[78:79]                                   // 000000004C5C: BEFE014E
	buffer_load_dword v190, v3, s[12:15], 0 idxen              // 000000004C60: E0502000 8003BE03
	s_mov_b64 exec, s[84:85]                                   // 000000004C68: BEFE0154
	v_mov_b32_e32 v191, 0                                      // 000000004C6C: 7F7E0280
	s_mov_b64 exec, s[78:79]                                   // 000000004C70: BEFE014E
	buffer_load_dword v191, v4, s[12:15], 0 idxen              // 000000004C74: E0502000 8003BF04
	s_mov_b64 exec, s[84:85]                                   // 000000004C7C: BEFE0154
	s_mul_i32 s60, 4, s6                                       // 000000004C80: 923C0684
	s_cmp_lt_i32 2, s73                                        // 000000004C84: BF044982
	s_cselect_b32 s60, s60, 0                                  // 000000004C88: 853C803C
	v_add_u32_e32 v1, s60, v1                                  // 000000004C8C: 6802023C
	v_add_u32_e32 v2, s60, v2                                  // 000000004C90: 6804043C
	v_add_u32_e32 v3, s60, v3                                  // 000000004C94: 6806063C
	v_add_u32_e32 v4, s60, v4                                  // 000000004C98: 6808083C
	v_mov_b32_e32 v192, 0                                      // 000000004C9C: 7F800280
	s_mov_b64 exec, s[78:79]                                   // 000000004CA0: BEFE014E
	buffer_load_dword v192, v1, s[12:15], 0 idxen              // 000000004CA4: E0502000 8003C001
	s_mov_b64 exec, s[84:85]                                   // 000000004CAC: BEFE0154
	v_mov_b32_e32 v193, 0                                      // 000000004CB0: 7F820280
	s_mov_b64 exec, s[78:79]                                   // 000000004CB4: BEFE014E
	buffer_load_dword v193, v2, s[12:15], 0 idxen              // 000000004CB8: E0502000 8003C102
	s_mov_b64 exec, s[84:85]                                   // 000000004CC0: BEFE0154
	v_mov_b32_e32 v194, 0                                      // 000000004CC4: 7F840280
	s_mov_b64 exec, s[78:79]                                   // 000000004CC8: BEFE014E
	buffer_load_dword v194, v3, s[12:15], 0 idxen              // 000000004CCC: E0502000 8003C203
	s_mov_b64 exec, s[84:85]                                   // 000000004CD4: BEFE0154
	v_mov_b32_e32 v195, 0                                      // 000000004CD8: 7F860280
	s_mov_b64 exec, s[78:79]                                   // 000000004CDC: BEFE014E
	buffer_load_dword v195, v4, s[12:15], 0 idxen              // 000000004CE0: E0502000 8003C304
	s_mov_b64 exec, s[84:85]                                   // 000000004CE8: BEFE0154
	s_mul_i32 s60, 4, s6                                       // 000000004CEC: 923C0684
	s_cmp_lt_i32 2, s73                                        // 000000004CF0: BF044982
	s_cselect_b32 s60, s60, 0                                  // 000000004CF4: 853C803C
	v_add_u32_e32 v1, s60, v1                                  // 000000004CF8: 6802023C
	v_add_u32_e32 v2, s60, v2                                  // 000000004CFC: 6804043C
	v_add_u32_e32 v3, s60, v3                                  // 000000004D00: 6806063C
	v_add_u32_e32 v4, s60, v4                                  // 000000004D04: 6808083C
	v_mov_b32_e32 v196, 0                                      // 000000004D08: 7F880280
	s_mov_b64 exec, s[78:79]                                   // 000000004D0C: BEFE014E
	buffer_load_dword v196, v1, s[12:15], 0 idxen              // 000000004D10: E0502000 8003C401
	s_mov_b64 exec, s[84:85]                                   // 000000004D18: BEFE0154
	v_mov_b32_e32 v197, 0                                      // 000000004D1C: 7F8A0280
	s_mov_b64 exec, s[78:79]                                   // 000000004D20: BEFE014E
	buffer_load_dword v197, v2, s[12:15], 0 idxen              // 000000004D24: E0502000 8003C502
	s_mov_b64 exec, s[84:85]                                   // 000000004D2C: BEFE0154
	v_mov_b32_e32 v198, 0                                      // 000000004D30: 7F8C0280
	s_mov_b64 exec, s[78:79]                                   // 000000004D34: BEFE014E
	buffer_load_dword v198, v3, s[12:15], 0 idxen              // 000000004D38: E0502000 8003C603
	s_mov_b64 exec, s[84:85]                                   // 000000004D40: BEFE0154
	v_mov_b32_e32 v199, 0                                      // 000000004D44: 7F8E0280
	s_mov_b64 exec, s[78:79]                                   // 000000004D48: BEFE014E
	buffer_load_dword v199, v4, s[12:15], 0 idxen              // 000000004D4C: E0502000 8003C704
	s_mov_b64 exec, s[84:85]                                   // 000000004D54: BEFE0154
	s_mul_i32 s60, 4, s6                                       // 000000004D58: 923C0684
	s_cmp_lt_i32 3, s73                                        // 000000004D5C: BF044983
	s_cselect_b32 s60, s60, 0                                  // 000000004D60: 853C803C
	v_add_u32_e32 v1, s60, v1                                  // 000000004D64: 6802023C
	v_add_u32_e32 v2, s60, v2                                  // 000000004D68: 6804043C
	v_add_u32_e32 v3, s60, v3                                  // 000000004D6C: 6806063C
	v_add_u32_e32 v4, s60, v4                                  // 000000004D70: 6808083C
	s_waitcnt vmcnt(32) lgkmcnt(0)                             // 000000004D74: BF8C8070
	s_barrier                                                  // 000000004D78: BF8A0000
	s_cmp_lt_i32 0, s73                                        // 000000004D7C: BF044980
	s_cbranch_scc1 label_03F1                                  // 000000004D80: BF850010
	v_mov_b32_e32 v152, 0                                      // 000000004D84: 7F300280
	v_mov_b32_e32 v153, 0                                      // 000000004D88: 7F320280
	v_mov_b32_e32 v154, 0                                      // 000000004D8C: 7F340280
	v_mov_b32_e32 v155, 0                                      // 000000004D90: 7F360280
	v_mov_b32_e32 v156, 0                                      // 000000004D94: 7F380280
	v_mov_b32_e32 v157, 0                                      // 000000004D98: 7F3A0280
	v_mov_b32_e32 v158, 0                                      // 000000004D9C: 7F3C0280
	v_mov_b32_e32 v159, 0                                      // 000000004DA0: 7F3E0280
	v_mov_b32_e32 v160, 0                                      // 000000004DA4: 7F400280
	v_mov_b32_e32 v161, 0                                      // 000000004DA8: 7F420280
	v_mov_b32_e32 v162, 0                                      // 000000004DAC: 7F440280
	v_mov_b32_e32 v163, 0                                      // 000000004DB0: 7F460280
	v_mov_b32_e32 v164, 0                                      // 000000004DB4: 7F480280
	v_mov_b32_e32 v165, 0                                      // 000000004DB8: 7F4A0280
	v_mov_b32_e32 v166, 0                                      // 000000004DBC: 7F4C0280
	v_mov_b32_e32 v167, 0                                      // 000000004DC0: 7F4E0280

0000000000004dc4 <label_03F1>:
	v_perm_b32 v200, v153, v152, s63                           // 000000004DC4: D1ED00C8 00FF3199
	v_perm_b32 v201, v153, v152, s64                           // 000000004DCC: D1ED00C9 01033199
	v_perm_b32 v202, v155, v154, s63                           // 000000004DD4: D1ED00CA 00FF359B
	v_perm_b32 v203, v155, v154, s64                           // 000000004DDC: D1ED00CB 0103359B
	v_perm_b32 v204, v157, v156, s63                           // 000000004DE4: D1ED00CC 00FF399D
	v_perm_b32 v205, v157, v156, s64                           // 000000004DEC: D1ED00CD 0103399D
	v_perm_b32 v206, v159, v158, s63                           // 000000004DF4: D1ED00CE 00FF3D9F
	v_perm_b32 v207, v159, v158, s64                           // 000000004DFC: D1ED00CF 01033D9F
	v_perm_b32 v208, v161, v160, s63                           // 000000004E04: D1ED00D0 00FF41A1
	v_perm_b32 v209, v161, v160, s64                           // 000000004E0C: D1ED00D1 010341A1
	v_perm_b32 v210, v163, v162, s63                           // 000000004E14: D1ED00D2 00FF45A3
	v_perm_b32 v211, v163, v162, s64                           // 000000004E1C: D1ED00D3 010345A3
	v_perm_b32 v212, v165, v164, s63                           // 000000004E24: D1ED00D4 00FF49A5
	v_perm_b32 v213, v165, v164, s64                           // 000000004E2C: D1ED00D5 010349A5
	v_perm_b32 v214, v167, v166, s63                           // 000000004E34: D1ED00D6 00FF4DA7
	v_perm_b32 v215, v167, v166, s64                           // 000000004E3C: D1ED00D7 01034DA7
	ds_write_b32 v13, v200 offset:17408                        // 000000004E44: D81A4400 0000C80D
	ds_write_b32 v13, v201 offset:18464                        // 000000004E4C: D81A4820 0000C90D
	ds_write_b32 v13, v202 offset:17536                        // 000000004E54: D81A4480 0000CA0D
	ds_write_b32 v13, v203 offset:18592                        // 000000004E5C: D81A48A0 0000CB0D
	ds_write_b32 v13, v204 offset:21760                        // 000000004E64: D81A5500 0000CC0D
	ds_write_b32 v13, v205 offset:22816                        // 000000004E6C: D81A5920 0000CD0D
	ds_write_b32 v13, v206 offset:21888                        // 000000004E74: D81A5580 0000CE0D
	ds_write_b32 v13, v207 offset:22944                        // 000000004E7C: D81A59A0 0000CF0D
	ds_write_b32 v13, v208 offset:26112                        // 000000004E84: D81A6600 0000D00D
	ds_write_b32 v13, v209 offset:27168                        // 000000004E8C: D81A6A20 0000D10D
	ds_write_b32 v13, v210 offset:26240                        // 000000004E94: D81A6680 0000D20D
	ds_write_b32 v13, v211 offset:27296                        // 000000004E9C: D81A6AA0 0000D30D
	ds_write_b32 v13, v212 offset:30464                        // 000000004EA4: D81A7700 0000D40D
	ds_write_b32 v13, v213 offset:31520                        // 000000004EAC: D81A7B20 0000D50D
	ds_write_b32 v13, v214 offset:30592                        // 000000004EB4: D81A7780 0000D60D
	ds_write_b32 v13, v215 offset:31648                        // 000000004EBC: D81A7BA0 0000D70D
	ds_write_b32 v11, v152                                     // 000000004EC4: D81A0000 0000980B
	ds_write_b32 v11, v153 offset:1056                         // 000000004ECC: D81A0420 0000990B
	ds_write_b32 v11, v154 offset:128                          // 000000004ED4: D81A0080 00009A0B
	ds_write_b32 v11, v155 offset:1184                         // 000000004EDC: D81A04A0 00009B0B
	ds_write_b32 v11, v156 offset:4352                         // 000000004EE4: D81A1100 00009C0B
	ds_write_b32 v11, v157 offset:5408                         // 000000004EEC: D81A1520 00009D0B
	ds_write_b32 v11, v158 offset:4480                         // 000000004EF4: D81A1180 00009E0B
	ds_write_b32 v11, v159 offset:5536                         // 000000004EFC: D81A15A0 00009F0B
	ds_write_b32 v11, v160 offset:8704                         // 000000004F04: D81A2200 0000A00B
	ds_write_b32 v11, v161 offset:9760                         // 000000004F0C: D81A2620 0000A10B
	ds_write_b32 v11, v162 offset:8832                         // 000000004F14: D81A2280 0000A20B
	ds_write_b32 v11, v163 offset:9888                         // 000000004F1C: D81A26A0 0000A30B
	ds_write_b32 v11, v164 offset:13056                        // 000000004F24: D81A3300 0000A40B
	ds_write_b32 v11, v165 offset:14112                        // 000000004F2C: D81A3720 0000A50B
	ds_write_b32 v11, v166 offset:13184                        // 000000004F34: D81A3380 0000A60B
	ds_write_b32 v11, v167 offset:14240                        // 000000004F3C: D81A37A0 0000A70B
	v_mov_b32_e32 v152, 0                                      // 000000004F44: 7F300280
	s_mov_b64 exec, s[78:79]                                   // 000000004F48: BEFE014E
	buffer_load_dword v152, v252, s[16:19], 0 idxen            // 000000004F4C: E0502000 800498FC
	s_mov_b64 exec, s[84:85]                                   // 000000004F54: BEFE0154
	v_mov_b32_e32 v153, 0                                      // 000000004F58: 7F320280
	s_mov_b64 exec, s[78:79]                                   // 000000004F5C: BEFE014E
	buffer_load_dword v153, v253, s[16:19], 0 idxen            // 000000004F60: E0502000 800499FD
	s_mov_b64 exec, s[84:85]                                   // 000000004F68: BEFE0154
	v_mov_b32_e32 v154, 0                                      // 000000004F6C: 7F340280
	s_mov_b64 exec, s[78:79]                                   // 000000004F70: BEFE014E
	buffer_load_dword v154, v254, s[16:19], 0 idxen            // 000000004F74: E0502000 80049AFE
	s_mov_b64 exec, s[84:85]                                   // 000000004F7C: BEFE0154
	v_mov_b32_e32 v155, 0                                      // 000000004F80: 7F360280
	s_mov_b64 exec, s[78:79]                                   // 000000004F84: BEFE014E
	buffer_load_dword v155, v255, s[16:19], 0 idxen            // 000000004F88: E0502000 80049BFF
	s_mov_b64 exec, s[84:85]                                   // 000000004F90: BEFE0154
	s_mul_i32 s60, 4, s7                                       // 000000004F94: 923C0784
	s_cmp_lt_i32 0, s73                                        // 000000004F98: BF044980
	s_cselect_b32 s60, s60, 0                                  // 000000004F9C: 853C803C
	v_add_u32_e32 v252, s60, v252                              // 000000004FA0: 69F9F83C
	v_add_u32_e32 v253, s60, v253                              // 000000004FA4: 69FBFA3C
	v_add_u32_e32 v254, s60, v254                              // 000000004FA8: 69FDFC3C
	v_add_u32_e32 v255, s60, v255                              // 000000004FAC: 69FFFE3C
	v_mov_b32_e32 v156, 0                                      // 000000004FB0: 7F380280
	s_mov_b64 exec, s[78:79]                                   // 000000004FB4: BEFE014E
	buffer_load_dword v156, v252, s[16:19], 0 idxen            // 000000004FB8: E0502000 80049CFC
	s_mov_b64 exec, s[84:85]                                   // 000000004FC0: BEFE0154
	v_mov_b32_e32 v157, 0                                      // 000000004FC4: 7F3A0280
	s_mov_b64 exec, s[78:79]                                   // 000000004FC8: BEFE014E
	buffer_load_dword v157, v253, s[16:19], 0 idxen            // 000000004FCC: E0502000 80049DFD
	s_mov_b64 exec, s[84:85]                                   // 000000004FD4: BEFE0154
	v_mov_b32_e32 v158, 0                                      // 000000004FD8: 7F3C0280
	s_mov_b64 exec, s[78:79]                                   // 000000004FDC: BEFE014E
	buffer_load_dword v158, v254, s[16:19], 0 idxen            // 000000004FE0: E0502000 80049EFE
	s_mov_b64 exec, s[84:85]                                   // 000000004FE8: BEFE0154
	v_mov_b32_e32 v159, 0                                      // 000000004FEC: 7F3E0280
	s_mov_b64 exec, s[78:79]                                   // 000000004FF0: BEFE014E
	buffer_load_dword v159, v255, s[16:19], 0 idxen            // 000000004FF4: E0502000 80049FFF
	s_mov_b64 exec, s[84:85]                                   // 000000004FFC: BEFE0154
	s_mul_i32 s60, 4, s7                                       // 000000005000: 923C0784
	s_cmp_lt_i32 0, s73                                        // 000000005004: BF044980
	s_cselect_b32 s60, s60, 0                                  // 000000005008: 853C803C
	v_add_u32_e32 v252, s60, v252                              // 00000000500C: 69F9F83C
	v_add_u32_e32 v253, s60, v253                              // 000000005010: 69FBFA3C
	v_add_u32_e32 v254, s60, v254                              // 000000005014: 69FDFC3C
	v_add_u32_e32 v255, s60, v255                              // 000000005018: 69FFFE3C
	v_mov_b32_e32 v160, 0                                      // 00000000501C: 7F400280
	s_mov_b64 exec, s[78:79]                                   // 000000005020: BEFE014E
	buffer_load_dword v160, v252, s[16:19], 0 idxen            // 000000005024: E0502000 8004A0FC
	s_mov_b64 exec, s[84:85]                                   // 00000000502C: BEFE0154
	v_mov_b32_e32 v161, 0                                      // 000000005030: 7F420280
	s_mov_b64 exec, s[78:79]                                   // 000000005034: BEFE014E
	buffer_load_dword v161, v253, s[16:19], 0 idxen            // 000000005038: E0502000 8004A1FD
	s_mov_b64 exec, s[84:85]                                   // 000000005040: BEFE0154
	v_mov_b32_e32 v162, 0                                      // 000000005044: 7F440280
	s_mov_b64 exec, s[78:79]                                   // 000000005048: BEFE014E
	buffer_load_dword v162, v254, s[16:19], 0 idxen            // 00000000504C: E0502000 8004A2FE
	s_mov_b64 exec, s[84:85]                                   // 000000005054: BEFE0154
	v_mov_b32_e32 v163, 0                                      // 000000005058: 7F460280
	s_mov_b64 exec, s[78:79]                                   // 00000000505C: BEFE014E
	buffer_load_dword v163, v255, s[16:19], 0 idxen            // 000000005060: E0502000 8004A3FF
	s_mov_b64 exec, s[84:85]                                   // 000000005068: BEFE0154
	s_mul_i32 s60, 4, s7                                       // 00000000506C: 923C0784
	s_cmp_lt_i32 0, s73                                        // 000000005070: BF044980
	s_cselect_b32 s60, s60, 0                                  // 000000005074: 853C803C
	v_add_u32_e32 v252, s60, v252                              // 000000005078: 69F9F83C
	v_add_u32_e32 v253, s60, v253                              // 00000000507C: 69FBFA3C
	v_add_u32_e32 v254, s60, v254                              // 000000005080: 69FDFC3C
	v_add_u32_e32 v255, s60, v255                              // 000000005084: 69FFFE3C
	v_mov_b32_e32 v164, 0                                      // 000000005088: 7F480280
	s_mov_b64 exec, s[78:79]                                   // 00000000508C: BEFE014E
	buffer_load_dword v164, v252, s[16:19], 0 idxen            // 000000005090: E0502000 8004A4FC
	s_mov_b64 exec, s[84:85]                                   // 000000005098: BEFE0154
	v_mov_b32_e32 v165, 0                                      // 00000000509C: 7F4A0280
	s_mov_b64 exec, s[78:79]                                   // 0000000050A0: BEFE014E
	buffer_load_dword v165, v253, s[16:19], 0 idxen            // 0000000050A4: E0502000 8004A5FD
	s_mov_b64 exec, s[84:85]                                   // 0000000050AC: BEFE0154
	v_mov_b32_e32 v166, 0                                      // 0000000050B0: 7F4C0280
	s_mov_b64 exec, s[78:79]                                   // 0000000050B4: BEFE014E
	buffer_load_dword v166, v254, s[16:19], 0 idxen            // 0000000050B8: E0502000 8004A6FE
	s_mov_b64 exec, s[84:85]                                   // 0000000050C0: BEFE0154
	v_mov_b32_e32 v167, 0                                      // 0000000050C4: 7F4E0280
	s_mov_b64 exec, s[78:79]                                   // 0000000050C8: BEFE014E
	buffer_load_dword v167, v255, s[16:19], 0 idxen            // 0000000050CC: E0502000 8004A7FF
	s_mov_b64 exec, s[84:85]                                   // 0000000050D4: BEFE0154
	s_mul_i32 s60, 4, s7                                       // 0000000050D8: 923C0784
	s_cmp_lt_i32 1, s73                                        // 0000000050DC: BF044981
	s_cselect_b32 s60, s60, 0                                  // 0000000050E0: 853C803C
	v_add_u32_e32 v252, s60, v252                              // 0000000050E4: 69F9F83C
	v_add_u32_e32 v253, s60, v253                              // 0000000050E8: 69FBFA3C
	v_add_u32_e32 v254, s60, v254                              // 0000000050EC: 69FDFC3C
	v_add_u32_e32 v255, s60, v255                              // 0000000050F0: 69FFFE3C
	s_waitcnt lgkmcnt(0)                                       // 0000000050F4: BF8CC07F
	s_barrier                                                  // 0000000050F8: BF8A0000
	ds_read_b128 a[48:51], v23 offset:17408                    // 0000000050FC: DBFE4400 30000017
	ds_read_b128 a[52:55], v23 offset:17664                    // 000000005104: DBFE4500 34000017
	ds_read_b128 a[56:59], v23 offset:26112                    // 00000000510C: DBFE6600 38000017
	ds_read_b128 a[60:63], v23 offset:26368                    // 000000005114: DBFE6700 3C000017
	ds_read_b128 a[0:3], v22                                   // 00000000511C: DBFE0000 00000016
	ds_read_b128 a[4:7], v22 offset:512                        // 000000005124: DBFE0200 04000016
	ds_read_b128 a[8:11], v22 offset:2176                      // 00000000512C: DBFE0880 08000016
	ds_read_b128 a[12:15], v22 offset:2688                     // 000000005134: DBFE0A80 0C000016
	s_waitcnt vmcnt(32) lgkmcnt(0)                             // 00000000513C: BF8C8070
	s_barrier                                                  // 000000005140: BF8A0000
	s_cmp_lt_i32 1, s73                                        // 000000005144: BF044981
	s_cbranch_scc1 label_04E3                                  // 000000005148: BF850010
	v_mov_b32_e32 v168, 0                                      // 00000000514C: 7F500280
	v_mov_b32_e32 v169, 0                                      // 000000005150: 7F520280
	v_mov_b32_e32 v170, 0                                      // 000000005154: 7F540280
	v_mov_b32_e32 v171, 0                                      // 000000005158: 7F560280
	v_mov_b32_e32 v172, 0                                      // 00000000515C: 7F580280
	v_mov_b32_e32 v173, 0                                      // 000000005160: 7F5A0280
	v_mov_b32_e32 v174, 0                                      // 000000005164: 7F5C0280
	v_mov_b32_e32 v175, 0                                      // 000000005168: 7F5E0280
	v_mov_b32_e32 v176, 0                                      // 00000000516C: 7F600280
	v_mov_b32_e32 v177, 0                                      // 000000005170: 7F620280
	v_mov_b32_e32 v178, 0                                      // 000000005174: 7F640280
	v_mov_b32_e32 v179, 0                                      // 000000005178: 7F660280
	v_mov_b32_e32 v180, 0                                      // 00000000517C: 7F680280
	v_mov_b32_e32 v181, 0                                      // 000000005180: 7F6A0280
	v_mov_b32_e32 v182, 0                                      // 000000005184: 7F6C0280
	v_mov_b32_e32 v183, 0                                      // 000000005188: 7F6E0280

000000000000518c <label_04E3>:
	v_perm_b32 v200, v169, v168, s63                           // 00000000518C: D1ED00C8 00FF51A9
	v_perm_b32 v201, v169, v168, s64                           // 000000005194: D1ED00C9 010351A9
	v_perm_b32 v202, v171, v170, s63                           // 00000000519C: D1ED00CA 00FF55AB
	v_perm_b32 v203, v171, v170, s64                           // 0000000051A4: D1ED00CB 010355AB
	v_perm_b32 v204, v173, v172, s63                           // 0000000051AC: D1ED00CC 00FF59AD
	v_perm_b32 v205, v173, v172, s64                           // 0000000051B4: D1ED00CD 010359AD
	v_perm_b32 v206, v175, v174, s63                           // 0000000051BC: D1ED00CE 00FF5DAF
	v_perm_b32 v207, v175, v174, s64                           // 0000000051C4: D1ED00CF 01035DAF
	v_perm_b32 v208, v177, v176, s63                           // 0000000051CC: D1ED00D0 00FF61B1
	v_perm_b32 v209, v177, v176, s64                           // 0000000051D4: D1ED00D1 010361B1
	v_perm_b32 v210, v179, v178, s63                           // 0000000051DC: D1ED00D2 00FF65B3
	v_perm_b32 v211, v179, v178, s64                           // 0000000051E4: D1ED00D3 010365B3
	v_perm_b32 v212, v181, v180, s63                           // 0000000051EC: D1ED00D4 00FF69B5
	v_perm_b32 v213, v181, v180, s64                           // 0000000051F4: D1ED00D5 010369B5
	v_perm_b32 v214, v183, v182, s63                           // 0000000051FC: D1ED00D6 00FF6DB7
	v_perm_b32 v215, v183, v182, s64                           // 000000005204: D1ED00D7 01036DB7
	ds_write_b32 v13, v200 offset:17408                        // 00000000520C: D81A4400 0000C80D
	ds_write_b32 v13, v201 offset:18464                        // 000000005214: D81A4820 0000C90D
	ds_write_b32 v13, v202 offset:17536                        // 00000000521C: D81A4480 0000CA0D
	ds_write_b32 v13, v203 offset:18592                        // 000000005224: D81A48A0 0000CB0D
	ds_write_b32 v13, v204 offset:21760                        // 00000000522C: D81A5500 0000CC0D
	ds_write_b32 v13, v205 offset:22816                        // 000000005234: D81A5920 0000CD0D
	ds_write_b32 v13, v206 offset:21888                        // 00000000523C: D81A5580 0000CE0D
	ds_write_b32 v13, v207 offset:22944                        // 000000005244: D81A59A0 0000CF0D
	ds_write_b32 v13, v208 offset:26112                        // 00000000524C: D81A6600 0000D00D
	ds_write_b32 v13, v209 offset:27168                        // 000000005254: D81A6A20 0000D10D
	ds_write_b32 v13, v210 offset:26240                        // 00000000525C: D81A6680 0000D20D
	ds_write_b32 v13, v211 offset:27296                        // 000000005264: D81A6AA0 0000D30D
	ds_write_b32 v13, v212 offset:30464                        // 00000000526C: D81A7700 0000D40D
	ds_write_b32 v13, v213 offset:31520                        // 000000005274: D81A7B20 0000D50D
	ds_write_b32 v13, v214 offset:30592                        // 00000000527C: D81A7780 0000D60D
	ds_write_b32 v13, v215 offset:31648                        // 000000005284: D81A7BA0 0000D70D
	ds_write_b32 v11, v168                                     // 00000000528C: D81A0000 0000A80B
	ds_write_b32 v11, v169 offset:1056                         // 000000005294: D81A0420 0000A90B
	ds_write_b32 v11, v170 offset:128                          // 00000000529C: D81A0080 0000AA0B
	ds_write_b32 v11, v171 offset:1184                         // 0000000052A4: D81A04A0 0000AB0B
	ds_write_b32 v11, v172 offset:4352                         // 0000000052AC: D81A1100 0000AC0B
	ds_write_b32 v11, v173 offset:5408                         // 0000000052B4: D81A1520 0000AD0B
	ds_write_b32 v11, v174 offset:4480                         // 0000000052BC: D81A1180 0000AE0B
	ds_write_b32 v11, v175 offset:5536                         // 0000000052C4: D81A15A0 0000AF0B
	ds_write_b32 v11, v176 offset:8704                         // 0000000052CC: D81A2200 0000B00B
	ds_write_b32 v11, v177 offset:9760                         // 0000000052D4: D81A2620 0000B10B
	ds_write_b32 v11, v178 offset:8832                         // 0000000052DC: D81A2280 0000B20B
	ds_write_b32 v11, v179 offset:9888                         // 0000000052E4: D81A26A0 0000B30B
	ds_write_b32 v11, v180 offset:13056                        // 0000000052EC: D81A3300 0000B40B
	ds_write_b32 v11, v181 offset:14112                        // 0000000052F4: D81A3720 0000B50B
	ds_write_b32 v11, v182 offset:13184                        // 0000000052FC: D81A3380 0000B60B
	ds_write_b32 v11, v183 offset:14240                        // 000000005304: D81A37A0 0000B70B
	v_mov_b32_e32 v168, 0                                      // 00000000530C: 7F500280
	s_mov_b64 exec, s[78:79]                                   // 000000005310: BEFE014E
	buffer_load_dword v168, v252, s[16:19], 0 idxen            // 000000005314: E0502000 8004A8FC
	s_mov_b64 exec, s[84:85]                                   // 00000000531C: BEFE0154
	v_mov_b32_e32 v169, 0                                      // 000000005320: 7F520280
	s_mov_b64 exec, s[78:79]                                   // 000000005324: BEFE014E
	buffer_load_dword v169, v253, s[16:19], 0 idxen            // 000000005328: E0502000 8004A9FD
	s_mov_b64 exec, s[84:85]                                   // 000000005330: BEFE0154
	v_mov_b32_e32 v170, 0                                      // 000000005334: 7F540280
	s_mov_b64 exec, s[78:79]                                   // 000000005338: BEFE014E
	buffer_load_dword v170, v254, s[16:19], 0 idxen            // 00000000533C: E0502000 8004AAFE
	s_mov_b64 exec, s[84:85]                                   // 000000005344: BEFE0154
	v_mov_b32_e32 v171, 0                                      // 000000005348: 7F560280
	s_mov_b64 exec, s[78:79]                                   // 00000000534C: BEFE014E
	buffer_load_dword v171, v255, s[16:19], 0 idxen            // 000000005350: E0502000 8004ABFF
	s_mov_b64 exec, s[84:85]                                   // 000000005358: BEFE0154
	s_mul_i32 s60, 4, s7                                       // 00000000535C: 923C0784
	s_cmp_lt_i32 1, s73                                        // 000000005360: BF044981
	s_cselect_b32 s60, s60, 0                                  // 000000005364: 853C803C
	v_add_u32_e32 v252, s60, v252                              // 000000005368: 69F9F83C
	v_add_u32_e32 v253, s60, v253                              // 00000000536C: 69FBFA3C
	v_add_u32_e32 v254, s60, v254                              // 000000005370: 69FDFC3C
	v_add_u32_e32 v255, s60, v255                              // 000000005374: 69FFFE3C
	v_mov_b32_e32 v172, 0                                      // 000000005378: 7F580280
	s_mov_b64 exec, s[78:79]                                   // 00000000537C: BEFE014E
	buffer_load_dword v172, v252, s[16:19], 0 idxen            // 000000005380: E0502000 8004ACFC
	s_mov_b64 exec, s[84:85]                                   // 000000005388: BEFE0154
	v_mov_b32_e32 v173, 0                                      // 00000000538C: 7F5A0280
	s_mov_b64 exec, s[78:79]                                   // 000000005390: BEFE014E
	buffer_load_dword v173, v253, s[16:19], 0 idxen            // 000000005394: E0502000 8004ADFD
	s_mov_b64 exec, s[84:85]                                   // 00000000539C: BEFE0154
	v_mov_b32_e32 v174, 0                                      // 0000000053A0: 7F5C0280
	s_mov_b64 exec, s[78:79]                                   // 0000000053A4: BEFE014E
	buffer_load_dword v174, v254, s[16:19], 0 idxen            // 0000000053A8: E0502000 8004AEFE
	s_mov_b64 exec, s[84:85]                                   // 0000000053B0: BEFE0154
	v_mov_b32_e32 v175, 0                                      // 0000000053B4: 7F5E0280
	s_mov_b64 exec, s[78:79]                                   // 0000000053B8: BEFE014E
	buffer_load_dword v175, v255, s[16:19], 0 idxen            // 0000000053BC: E0502000 8004AFFF
	s_mov_b64 exec, s[84:85]                                   // 0000000053C4: BEFE0154
	s_mul_i32 s60, 4, s7                                       // 0000000053C8: 923C0784
	s_cmp_lt_i32 1, s73                                        // 0000000053CC: BF044981
	s_cselect_b32 s60, s60, 0                                  // 0000000053D0: 853C803C
	v_add_u32_e32 v252, s60, v252                              // 0000000053D4: 69F9F83C
	v_add_u32_e32 v253, s60, v253                              // 0000000053D8: 69FBFA3C
	v_add_u32_e32 v254, s60, v254                              // 0000000053DC: 69FDFC3C
	v_add_u32_e32 v255, s60, v255                              // 0000000053E0: 69FFFE3C
	v_mov_b32_e32 v176, 0                                      // 0000000053E4: 7F600280
	s_mov_b64 exec, s[78:79]                                   // 0000000053E8: BEFE014E
	buffer_load_dword v176, v252, s[16:19], 0 idxen            // 0000000053EC: E0502000 8004B0FC
	s_mov_b64 exec, s[84:85]                                   // 0000000053F4: BEFE0154
	v_mov_b32_e32 v177, 0                                      // 0000000053F8: 7F620280
	s_mov_b64 exec, s[78:79]                                   // 0000000053FC: BEFE014E
	buffer_load_dword v177, v253, s[16:19], 0 idxen            // 000000005400: E0502000 8004B1FD
	s_mov_b64 exec, s[84:85]                                   // 000000005408: BEFE0154
	v_mov_b32_e32 v178, 0                                      // 00000000540C: 7F640280
	s_mov_b64 exec, s[78:79]                                   // 000000005410: BEFE014E
	buffer_load_dword v178, v254, s[16:19], 0 idxen            // 000000005414: E0502000 8004B2FE
	s_mov_b64 exec, s[84:85]                                   // 00000000541C: BEFE0154
	v_mov_b32_e32 v179, 0                                      // 000000005420: 7F660280
	s_mov_b64 exec, s[78:79]                                   // 000000005424: BEFE014E
	buffer_load_dword v179, v255, s[16:19], 0 idxen            // 000000005428: E0502000 8004B3FF
	s_mov_b64 exec, s[84:85]                                   // 000000005430: BEFE0154
	s_mul_i32 s60, 4, s7                                       // 000000005434: 923C0784
	s_cmp_lt_i32 1, s73                                        // 000000005438: BF044981
	s_cselect_b32 s60, s60, 0                                  // 00000000543C: 853C803C
	v_add_u32_e32 v252, s60, v252                              // 000000005440: 69F9F83C
	v_add_u32_e32 v253, s60, v253                              // 000000005444: 69FBFA3C
	v_add_u32_e32 v254, s60, v254                              // 000000005448: 69FDFC3C
	v_add_u32_e32 v255, s60, v255                              // 00000000544C: 69FFFE3C
	v_mov_b32_e32 v180, 0                                      // 000000005450: 7F680280
	s_mov_b64 exec, s[78:79]                                   // 000000005454: BEFE014E
	buffer_load_dword v180, v252, s[16:19], 0 idxen            // 000000005458: E0502000 8004B4FC
	s_mov_b64 exec, s[84:85]                                   // 000000005460: BEFE0154
	v_mov_b32_e32 v181, 0                                      // 000000005464: 7F6A0280
	s_mov_b64 exec, s[78:79]                                   // 000000005468: BEFE014E
	buffer_load_dword v181, v253, s[16:19], 0 idxen            // 00000000546C: E0502000 8004B5FD
	s_mov_b64 exec, s[84:85]                                   // 000000005474: BEFE0154
	v_mov_b32_e32 v182, 0                                      // 000000005478: 7F6C0280
	s_mov_b64 exec, s[78:79]                                   // 00000000547C: BEFE014E
	buffer_load_dword v182, v254, s[16:19], 0 idxen            // 000000005480: E0502000 8004B6FE
	s_mov_b64 exec, s[84:85]                                   // 000000005488: BEFE0154
	v_mov_b32_e32 v183, 0                                      // 00000000548C: 7F6E0280
	s_mov_b64 exec, s[78:79]                                   // 000000005490: BEFE014E
	buffer_load_dword v183, v255, s[16:19], 0 idxen            // 000000005494: E0502000 8004B7FF
	s_mov_b64 exec, s[84:85]                                   // 00000000549C: BEFE0154
	s_mul_i32 s60, 4, s7                                       // 0000000054A0: 923C0784
	s_cmp_lt_i32 2, s73                                        // 0000000054A4: BF044982
	s_cselect_b32 s60, s60, 0                                  // 0000000054A8: 853C803C
	v_add_u32_e32 v252, s60, v252                              // 0000000054AC: 69F9F83C
	v_add_u32_e32 v253, s60, v253                              // 0000000054B0: 69FBFA3C
	v_add_u32_e32 v254, s60, v254                              // 0000000054B4: 69FDFC3C
	v_add_u32_e32 v255, s60, v255                              // 0000000054B8: 69FFFE3C
	s_waitcnt lgkmcnt(0)                                       // 0000000054BC: BF8CC07F
	s_barrier                                                  // 0000000054C0: BF8A0000
	ds_read_b128 a[64:67], v23 offset:17408                    // 0000000054C4: DBFE4400 40000017
	ds_read_b128 a[68:71], v23 offset:17664                    // 0000000054CC: DBFE4500 44000017
	ds_read_b128 a[72:75], v23 offset:26112                    // 0000000054D4: DBFE6600 48000017
	ds_read_b128 a[76:79], v23 offset:26368                    // 0000000054DC: DBFE6700 4C000017
	ds_read_b128 a[16:19], v22                                 // 0000000054E4: DBFE0000 10000016
	ds_read_b128 a[20:23], v22 offset:512                      // 0000000054EC: DBFE0200 14000016
	ds_read_b128 a[24:27], v22 offset:2176                     // 0000000054F4: DBFE0880 18000016
	ds_read_b128 a[28:31], v22 offset:2688                     // 0000000054FC: DBFE0A80 1C000016
	s_waitcnt vmcnt(32) lgkmcnt(0)                             // 000000005504: BF8C8070
	s_barrier                                                  // 000000005508: BF8A0000
	s_cmp_lt_i32 2, s73                                        // 00000000550C: BF044982
	s_cbranch_scc1 label_05D5                                  // 000000005510: BF850010
	v_mov_b32_e32 v184, 0                                      // 000000005514: 7F700280
	v_mov_b32_e32 v185, 0                                      // 000000005518: 7F720280
	v_mov_b32_e32 v186, 0                                      // 00000000551C: 7F740280
	v_mov_b32_e32 v187, 0                                      // 000000005520: 7F760280
	v_mov_b32_e32 v188, 0                                      // 000000005524: 7F780280
	v_mov_b32_e32 v189, 0                                      // 000000005528: 7F7A0280
	v_mov_b32_e32 v190, 0                                      // 00000000552C: 7F7C0280
	v_mov_b32_e32 v191, 0                                      // 000000005530: 7F7E0280
	v_mov_b32_e32 v192, 0                                      // 000000005534: 7F800280
	v_mov_b32_e32 v193, 0                                      // 000000005538: 7F820280
	v_mov_b32_e32 v194, 0                                      // 00000000553C: 7F840280
	v_mov_b32_e32 v195, 0                                      // 000000005540: 7F860280
	v_mov_b32_e32 v196, 0                                      // 000000005544: 7F880280
	v_mov_b32_e32 v197, 0                                      // 000000005548: 7F8A0280
	v_mov_b32_e32 v198, 0                                      // 00000000554C: 7F8C0280
	v_mov_b32_e32 v199, 0                                      // 000000005550: 7F8E0280

0000000000005554 <label_05D5>:
	v_perm_b32 v200, v185, v184, s63                           // 000000005554: D1ED00C8 00FF71B9
	v_perm_b32 v201, v185, v184, s64                           // 00000000555C: D1ED00C9 010371B9
	v_perm_b32 v202, v187, v186, s63                           // 000000005564: D1ED00CA 00FF75BB
	v_perm_b32 v203, v187, v186, s64                           // 00000000556C: D1ED00CB 010375BB
	v_perm_b32 v204, v189, v188, s63                           // 000000005574: D1ED00CC 00FF79BD
	v_perm_b32 v205, v189, v188, s64                           // 00000000557C: D1ED00CD 010379BD
	v_perm_b32 v206, v191, v190, s63                           // 000000005584: D1ED00CE 00FF7DBF
	v_perm_b32 v207, v191, v190, s64                           // 00000000558C: D1ED00CF 01037DBF
	v_perm_b32 v208, v193, v192, s63                           // 000000005594: D1ED00D0 00FF81C1
	v_perm_b32 v209, v193, v192, s64                           // 00000000559C: D1ED00D1 010381C1
	v_perm_b32 v210, v195, v194, s63                           // 0000000055A4: D1ED00D2 00FF85C3
	v_perm_b32 v211, v195, v194, s64                           // 0000000055AC: D1ED00D3 010385C3
	v_perm_b32 v212, v197, v196, s63                           // 0000000055B4: D1ED00D4 00FF89C5
	v_perm_b32 v213, v197, v196, s64                           // 0000000055BC: D1ED00D5 010389C5
	v_perm_b32 v214, v199, v198, s63                           // 0000000055C4: D1ED00D6 00FF8DC7
	v_perm_b32 v215, v199, v198, s64                           // 0000000055CC: D1ED00D7 01038DC7
	ds_write_b32 v13, v200 offset:17408                        // 0000000055D4: D81A4400 0000C80D
	ds_write_b32 v13, v201 offset:18464                        // 0000000055DC: D81A4820 0000C90D
	ds_write_b32 v13, v202 offset:17536                        // 0000000055E4: D81A4480 0000CA0D
	ds_write_b32 v13, v203 offset:18592                        // 0000000055EC: D81A48A0 0000CB0D
	ds_write_b32 v13, v204 offset:21760                        // 0000000055F4: D81A5500 0000CC0D
	ds_write_b32 v13, v205 offset:22816                        // 0000000055FC: D81A5920 0000CD0D
	ds_write_b32 v13, v206 offset:21888                        // 000000005604: D81A5580 0000CE0D
	ds_write_b32 v13, v207 offset:22944                        // 00000000560C: D81A59A0 0000CF0D
	ds_write_b32 v13, v208 offset:26112                        // 000000005614: D81A6600 0000D00D
	ds_write_b32 v13, v209 offset:27168                        // 00000000561C: D81A6A20 0000D10D
	ds_write_b32 v13, v210 offset:26240                        // 000000005624: D81A6680 0000D20D
	ds_write_b32 v13, v211 offset:27296                        // 00000000562C: D81A6AA0 0000D30D
	ds_write_b32 v13, v212 offset:30464                        // 000000005634: D81A7700 0000D40D
	ds_write_b32 v13, v213 offset:31520                        // 00000000563C: D81A7B20 0000D50D
	ds_write_b32 v13, v214 offset:30592                        // 000000005644: D81A7780 0000D60D
	ds_write_b32 v13, v215 offset:31648                        // 00000000564C: D81A7BA0 0000D70D
	ds_write_b32 v11, v184                                     // 000000005654: D81A0000 0000B80B
	ds_write_b32 v11, v185 offset:1056                         // 00000000565C: D81A0420 0000B90B
	ds_write_b32 v11, v186 offset:128                          // 000000005664: D81A0080 0000BA0B
	ds_write_b32 v11, v187 offset:1184                         // 00000000566C: D81A04A0 0000BB0B
	ds_write_b32 v11, v188 offset:4352                         // 000000005674: D81A1100 0000BC0B
	ds_write_b32 v11, v189 offset:5408                         // 00000000567C: D81A1520 0000BD0B
	ds_write_b32 v11, v190 offset:4480                         // 000000005684: D81A1180 0000BE0B
	ds_write_b32 v11, v191 offset:5536                         // 00000000568C: D81A15A0 0000BF0B
	ds_write_b32 v11, v192 offset:8704                         // 000000005694: D81A2200 0000C00B
	ds_write_b32 v11, v193 offset:9760                         // 00000000569C: D81A2620 0000C10B
	ds_write_b32 v11, v194 offset:8832                         // 0000000056A4: D81A2280 0000C20B
	ds_write_b32 v11, v195 offset:9888                         // 0000000056AC: D81A26A0 0000C30B
	ds_write_b32 v11, v196 offset:13056                        // 0000000056B4: D81A3300 0000C40B
	ds_write_b32 v11, v197 offset:14112                        // 0000000056BC: D81A3720 0000C50B
	ds_write_b32 v11, v198 offset:13184                        // 0000000056C4: D81A3380 0000C60B
	ds_write_b32 v11, v199 offset:14240                        // 0000000056CC: D81A37A0 0000C70B
	v_mov_b32_e32 v184, 0                                      // 0000000056D4: 7F700280
	s_mov_b64 exec, s[78:79]                                   // 0000000056D8: BEFE014E
	buffer_load_dword v184, v252, s[16:19], 0 idxen            // 0000000056DC: E0502000 8004B8FC
	s_mov_b64 exec, s[84:85]                                   // 0000000056E4: BEFE0154
	v_mov_b32_e32 v185, 0                                      // 0000000056E8: 7F720280
	s_mov_b64 exec, s[78:79]                                   // 0000000056EC: BEFE014E
	buffer_load_dword v185, v253, s[16:19], 0 idxen            // 0000000056F0: E0502000 8004B9FD
	s_mov_b64 exec, s[84:85]                                   // 0000000056F8: BEFE0154
	v_mov_b32_e32 v186, 0                                      // 0000000056FC: 7F740280
	s_mov_b64 exec, s[78:79]                                   // 000000005700: BEFE014E
	buffer_load_dword v186, v254, s[16:19], 0 idxen            // 000000005704: E0502000 8004BAFE
	s_mov_b64 exec, s[84:85]                                   // 00000000570C: BEFE0154
	v_mov_b32_e32 v187, 0                                      // 000000005710: 7F760280
	s_mov_b64 exec, s[78:79]                                   // 000000005714: BEFE014E
	buffer_load_dword v187, v255, s[16:19], 0 idxen            // 000000005718: E0502000 8004BBFF
	s_mov_b64 exec, s[84:85]                                   // 000000005720: BEFE0154
	s_mul_i32 s60, 4, s7                                       // 000000005724: 923C0784
	s_cmp_lt_i32 2, s73                                        // 000000005728: BF044982
	s_cselect_b32 s60, s60, 0                                  // 00000000572C: 853C803C
	v_add_u32_e32 v252, s60, v252                              // 000000005730: 69F9F83C
	v_add_u32_e32 v253, s60, v253                              // 000000005734: 69FBFA3C
	v_add_u32_e32 v254, s60, v254                              // 000000005738: 69FDFC3C
	v_add_u32_e32 v255, s60, v255                              // 00000000573C: 69FFFE3C
	v_mov_b32_e32 v188, 0                                      // 000000005740: 7F780280
	s_mov_b64 exec, s[78:79]                                   // 000000005744: BEFE014E
	buffer_load_dword v188, v252, s[16:19], 0 idxen            // 000000005748: E0502000 8004BCFC
	s_mov_b64 exec, s[84:85]                                   // 000000005750: BEFE0154
	v_mov_b32_e32 v189, 0                                      // 000000005754: 7F7A0280
	s_mov_b64 exec, s[78:79]                                   // 000000005758: BEFE014E
	buffer_load_dword v189, v253, s[16:19], 0 idxen            // 00000000575C: E0502000 8004BDFD
	s_mov_b64 exec, s[84:85]                                   // 000000005764: BEFE0154
	v_mov_b32_e32 v190, 0                                      // 000000005768: 7F7C0280
	s_mov_b64 exec, s[78:79]                                   // 00000000576C: BEFE014E
	buffer_load_dword v190, v254, s[16:19], 0 idxen            // 000000005770: E0502000 8004BEFE
	s_mov_b64 exec, s[84:85]                                   // 000000005778: BEFE0154
	v_mov_b32_e32 v191, 0                                      // 00000000577C: 7F7E0280
	s_mov_b64 exec, s[78:79]                                   // 000000005780: BEFE014E
	buffer_load_dword v191, v255, s[16:19], 0 idxen            // 000000005784: E0502000 8004BFFF
	s_mov_b64 exec, s[84:85]                                   // 00000000578C: BEFE0154
	s_mul_i32 s60, 4, s7                                       // 000000005790: 923C0784
	s_cmp_lt_i32 2, s73                                        // 000000005794: BF044982
	s_cselect_b32 s60, s60, 0                                  // 000000005798: 853C803C
	v_add_u32_e32 v252, s60, v252                              // 00000000579C: 69F9F83C
	v_add_u32_e32 v253, s60, v253                              // 0000000057A0: 69FBFA3C
	v_add_u32_e32 v254, s60, v254                              // 0000000057A4: 69FDFC3C
	v_add_u32_e32 v255, s60, v255                              // 0000000057A8: 69FFFE3C
	v_mov_b32_e32 v192, 0                                      // 0000000057AC: 7F800280
	s_mov_b64 exec, s[78:79]                                   // 0000000057B0: BEFE014E
	buffer_load_dword v192, v252, s[16:19], 0 idxen            // 0000000057B4: E0502000 8004C0FC
	s_mov_b64 exec, s[84:85]                                   // 0000000057BC: BEFE0154
	v_mov_b32_e32 v193, 0                                      // 0000000057C0: 7F820280
	s_mov_b64 exec, s[78:79]                                   // 0000000057C4: BEFE014E
	buffer_load_dword v193, v253, s[16:19], 0 idxen            // 0000000057C8: E0502000 8004C1FD
	s_mov_b64 exec, s[84:85]                                   // 0000000057D0: BEFE0154
	v_mov_b32_e32 v194, 0                                      // 0000000057D4: 7F840280
	s_mov_b64 exec, s[78:79]                                   // 0000000057D8: BEFE014E
	buffer_load_dword v194, v254, s[16:19], 0 idxen            // 0000000057DC: E0502000 8004C2FE
	s_mov_b64 exec, s[84:85]                                   // 0000000057E4: BEFE0154
	v_mov_b32_e32 v195, 0                                      // 0000000057E8: 7F860280
	s_mov_b64 exec, s[78:79]                                   // 0000000057EC: BEFE014E
	buffer_load_dword v195, v255, s[16:19], 0 idxen            // 0000000057F0: E0502000 8004C3FF
	s_mov_b64 exec, s[84:85]                                   // 0000000057F8: BEFE0154
	s_mul_i32 s60, 4, s7                                       // 0000000057FC: 923C0784
	s_cmp_lt_i32 2, s73                                        // 000000005800: BF044982
	s_cselect_b32 s60, s60, 0                                  // 000000005804: 853C803C
	v_add_u32_e32 v252, s60, v252                              // 000000005808: 69F9F83C
	v_add_u32_e32 v253, s60, v253                              // 00000000580C: 69FBFA3C
	v_add_u32_e32 v254, s60, v254                              // 000000005810: 69FDFC3C
	v_add_u32_e32 v255, s60, v255                              // 000000005814: 69FFFE3C
	v_mov_b32_e32 v196, 0                                      // 000000005818: 7F880280
	s_mov_b64 exec, s[78:79]                                   // 00000000581C: BEFE014E
	buffer_load_dword v196, v252, s[16:19], 0 idxen            // 000000005820: E0502000 8004C4FC
	s_mov_b64 exec, s[84:85]                                   // 000000005828: BEFE0154
	v_mov_b32_e32 v197, 0                                      // 00000000582C: 7F8A0280
	s_mov_b64 exec, s[78:79]                                   // 000000005830: BEFE014E
	buffer_load_dword v197, v253, s[16:19], 0 idxen            // 000000005834: E0502000 8004C5FD
	s_mov_b64 exec, s[84:85]                                   // 00000000583C: BEFE0154
	v_mov_b32_e32 v198, 0                                      // 000000005840: 7F8C0280
	s_mov_b64 exec, s[78:79]                                   // 000000005844: BEFE014E
	buffer_load_dword v198, v254, s[16:19], 0 idxen            // 000000005848: E0502000 8004C6FE
	s_mov_b64 exec, s[84:85]                                   // 000000005850: BEFE0154
	v_mov_b32_e32 v199, 0                                      // 000000005854: 7F8E0280
	s_mov_b64 exec, s[78:79]                                   // 000000005858: BEFE014E
	buffer_load_dword v199, v255, s[16:19], 0 idxen            // 00000000585C: E0502000 8004C7FF
	s_mov_b64 exec, s[84:85]                                   // 000000005864: BEFE0154
	s_mul_i32 s60, 4, s7                                       // 000000005868: 923C0784
	s_cmp_lt_i32 3, s73                                        // 00000000586C: BF044983
	s_cselect_b32 s60, s60, 0                                  // 000000005870: 853C803C
	v_add_u32_e32 v252, s60, v252                              // 000000005874: 69F9F83C
	v_add_u32_e32 v253, s60, v253                              // 000000005878: 69FBFA3C
	v_add_u32_e32 v254, s60, v254                              // 00000000587C: 69FDFC3C
	v_add_u32_e32 v255, s60, v255                              // 000000005880: 69FFFE3C
	s_waitcnt lgkmcnt(0)                                       // 000000005884: BF8CC07F
	s_barrier                                                  // 000000005888: BF8A0000
	ds_read_b128 a[80:83], v23 offset:17408                    // 00000000588C: DBFE4400 50000017
	ds_read_b128 a[84:87], v23 offset:17664                    // 000000005894: DBFE4500 54000017
	ds_read_b128 a[88:91], v23 offset:26112                    // 00000000589C: DBFE6600 58000017
	ds_read_b128 a[92:95], v23 offset:26368                    // 0000000058A4: DBFE6700 5C000017
	ds_read_b128 a[32:35], v22                                 // 0000000058AC: DBFE0000 20000016
	ds_read_b128 a[36:39], v22 offset:512                      // 0000000058B4: DBFE0200 24000016
	ds_read_b128 a[40:43], v22 offset:2176                     // 0000000058BC: DBFE0880 28000016
	ds_read_b128 a[44:47], v22 offset:2688                     // 0000000058C4: DBFE0A80 2C000016
	s_waitcnt vmcnt(32) lgkmcnt(0)                             // 0000000058CC: BF8C8070
	s_barrier                                                  // 0000000058D0: BF8A0000
	s_cmp_lt_i32 0, s73                                        // 0000000058D4: BF044980
	s_cbranch_scc1 label_06C7                                  // 0000000058D8: BF850010
	v_mov_b32_e32 v152, 0                                      // 0000000058DC: 7F300280
	v_mov_b32_e32 v153, 0                                      // 0000000058E0: 7F320280
	v_mov_b32_e32 v154, 0                                      // 0000000058E4: 7F340280
	v_mov_b32_e32 v155, 0                                      // 0000000058E8: 7F360280
	v_mov_b32_e32 v156, 0                                      // 0000000058EC: 7F380280
	v_mov_b32_e32 v157, 0                                      // 0000000058F0: 7F3A0280
	v_mov_b32_e32 v158, 0                                      // 0000000058F4: 7F3C0280
	v_mov_b32_e32 v159, 0                                      // 0000000058F8: 7F3E0280
	v_mov_b32_e32 v160, 0                                      // 0000000058FC: 7F400280
	v_mov_b32_e32 v161, 0                                      // 000000005900: 7F420280
	v_mov_b32_e32 v162, 0                                      // 000000005904: 7F440280
	v_mov_b32_e32 v163, 0                                      // 000000005908: 7F460280
	v_mov_b32_e32 v164, 0                                      // 00000000590C: 7F480280
	v_mov_b32_e32 v165, 0                                      // 000000005910: 7F4A0280
	v_mov_b32_e32 v166, 0                                      // 000000005914: 7F4C0280
	v_mov_b32_e32 v167, 0                                      // 000000005918: 7F4E0280

000000000000591c <label_06C7>:
	ds_write_b32 v11, v152                                     // 00000000591C: D81A0000 0000980B
	ds_write_b32 v11, v153 offset:1056                         // 000000005924: D81A0420 0000990B
	ds_write_b32 v11, v154 offset:128                          // 00000000592C: D81A0080 00009A0B
	ds_write_b32 v11, v155 offset:1184                         // 000000005934: D81A04A0 00009B0B
	ds_write_b32 v11, v156 offset:4352                         // 00000000593C: D81A1100 00009C0B
	ds_write_b32 v11, v157 offset:5408                         // 000000005944: D81A1520 00009D0B
	ds_write_b32 v11, v158 offset:4480                         // 00000000594C: D81A1180 00009E0B
	ds_write_b32 v11, v159 offset:5536                         // 000000005954: D81A15A0 00009F0B
	ds_write_b32 v11, v160 offset:8704                         // 00000000595C: D81A2200 0000A00B
	ds_write_b32 v11, v161 offset:9760                         // 000000005964: D81A2620 0000A10B
	ds_write_b32 v11, v162 offset:8832                         // 00000000596C: D81A2280 0000A20B
	ds_write_b32 v11, v163 offset:9888                         // 000000005974: D81A26A0 0000A30B
	ds_write_b32 v11, v164 offset:13056                        // 00000000597C: D81A3300 0000A40B
	ds_write_b32 v11, v165 offset:14112                        // 000000005984: D81A3720 0000A50B
	ds_write_b32 v11, v166 offset:13184                        // 00000000598C: D81A3380 0000A60B
	ds_write_b32 v11, v167 offset:14240                        // 000000005994: D81A37A0 0000A70B
	s_mov_b32 s71, s5                                          // 00000000599C: BEC70005
	v_lshrrev_b32_e32 v28, 4, v0                               // 0000000059A0: 20380084
	v_and_b32_e32 v29, 1, v28                                  // 0000000059A4: 263A3881
	v_lshlrev_b32_e32 v29, 1, v29                              // 0000000059A8: 243A3A81
	v_mul_i32_i24_e32 v29, s71, v29                            // 0000000059AC: 0C3A3A47
	v_and_b32_e32 v30, 2, v28                                  // 0000000059B0: 263C3882
	v_lshlrev_b32_e32 v30, 5, v30                              // 0000000059B4: 243C3C85
	v_add_u32_e32 v29, v30, v29                                // 0000000059B8: 683A3B1E
	v_and_b32_e32 v28, 15, v0                                  // 0000000059BC: 2638008F
	v_lshlrev_b32_e32 v28, 2, v28                              // 0000000059C0: 24383882
	v_add_u32_e32 v1, v28, v29                                 // 0000000059C4: 68023B1C
	s_and_b32 s60, 1, s46                                      // 0000000059C8: 863C2E81
	s_mul_i32 s60, s60, s71                                    // 0000000059CC: 923C473C
	s_mul_i32 s60, s60, 8                                      // 0000000059D0: 923C883C
	s_lshr_b32 s61, s46, 1                                     // 0000000059D4: 8F3D812E
	s_mul_i32 s61, s61, 0x80                                   // 0000000059D8: 923DFF3D 00000080
	s_add_u32 s60, s60, s61                                    // 0000000059E0: 803C3D3C
	v_add_u32_e32 v1, s60, v1                                  // 0000000059E4: 6802023C
	v_add_u32_e32 v2, s71, v1                                  // 0000000059E8: 68040247
	s_mul_i32 s60, 4, s71                                      // 0000000059EC: 923C4784
	v_add_u32_e32 v3, s60, v1                                  // 0000000059F0: 6806023C
	v_add_u32_e32 v4, s60, v2                                  // 0000000059F4: 6808043C
	s_mov_b32 s71, s51                                         // 0000000059F8: BEC70033
	v_lshrrev_b32_e32 v28, 4, v0                               // 0000000059FC: 20380084
	v_and_b32_e32 v29, 1, v28                                  // 000000005A00: 263A3881
	v_lshlrev_b32_e32 v29, 1, v29                              // 000000005A04: 243A3A81
	v_mul_i32_i24_e32 v29, s71, v29                            // 000000005A08: 0C3A3A47
	v_and_b32_e32 v30, 2, v28                                  // 000000005A0C: 263C3882
	v_lshlrev_b32_e32 v30, 5, v30                              // 000000005A10: 243C3C85
	v_add_u32_e32 v29, v30, v29                                // 000000005A14: 683A3B1E
	v_and_b32_e32 v28, 15, v0                                  // 000000005A18: 2638008F
	v_lshlrev_b32_e32 v28, 2, v28                              // 000000005A1C: 24383882
	v_add_u32_e32 v252, v28, v29                               // 000000005A20: 69F83B1C
	s_and_b32 s60, 1, s46                                      // 000000005A24: 863C2E81
	s_mul_i32 s60, s60, s71                                    // 000000005A28: 923C473C
	s_mul_i32 s60, s60, 8                                      // 000000005A2C: 923C883C
	s_lshr_b32 s61, s46, 1                                     // 000000005A30: 8F3D812E
	s_mul_i32 s61, s61, 0x80                                   // 000000005A34: 923DFF3D 00000080
	s_add_u32 s60, s60, s61                                    // 000000005A3C: 803C3D3C
	v_add_u32_e32 v252, s60, v252                              // 000000005A40: 69F9F83C
	v_add_u32_e32 v253, s71, v252                              // 000000005A44: 69FBF847
	s_mul_i32 s60, 4, s71                                      // 000000005A48: 923C4784
	v_add_u32_e32 v254, s60, v252                              // 000000005A4C: 69FDF83C
	v_add_u32_e32 v255, s60, v253                              // 000000005A50: 69FFFA3C
	v_lshrrev_b32_e32 v1, 2, v1                                // 000000005A54: 20020282
	v_lshrrev_b32_e32 v2, 2, v2                                // 000000005A58: 20040482
	v_lshrrev_b32_e32 v3, 2, v3                                // 000000005A5C: 20060682
	v_lshrrev_b32_e32 v4, 2, v4                                // 000000005A60: 20080882
	v_lshrrev_b32_e32 v252, 2, v252                            // 000000005A64: 21F9F882
	v_lshrrev_b32_e32 v253, 2, v253                            // 000000005A68: 21FBFA82
	v_lshrrev_b32_e32 v254, 2, v254                            // 000000005A6C: 21FDFC82
	v_lshrrev_b32_e32 v255, 2, v255                            // 000000005A70: 21FFFE82
	v_mov_b32_e32 v32, 0                                       // 000000005A74: 7E400280
	s_mov_b64 exec, s[78:79]                                   // 000000005A78: BEFE014E
	buffer_load_dword v32, v1, s[8:11], 0 idxen                // 000000005A7C: E0502000 80022001
	s_mov_b64 exec, s[84:85]                                   // 000000005A84: BEFE0154
	v_mov_b32_e32 v33, 0                                       // 000000005A88: 7E420280
	s_mov_b64 exec, s[78:79]                                   // 000000005A8C: BEFE014E
	buffer_load_dword v33, v2, s[8:11], 0 idxen                // 000000005A90: E0502000 80022102
	s_mov_b64 exec, s[84:85]                                   // 000000005A98: BEFE0154
	v_mov_b32_e32 v34, 0                                       // 000000005A9C: 7E440280
	s_mov_b64 exec, s[78:79]                                   // 000000005AA0: BEFE014E
	buffer_load_dword v34, v3, s[8:11], 0 idxen                // 000000005AA4: E0502000 80022203
	s_mov_b64 exec, s[84:85]                                   // 000000005AAC: BEFE0154
	v_mov_b32_e32 v35, 0                                       // 000000005AB0: 7E460280
	s_mov_b64 exec, s[78:79]                                   // 000000005AB4: BEFE014E
	buffer_load_dword v35, v4, s[8:11], 0 idxen                // 000000005AB8: E0502000 80022304
	s_mov_b64 exec, s[84:85]                                   // 000000005AC0: BEFE0154
	v_mov_b32_e32 v40, 0                                       // 000000005AC4: 7E500280
	s_mov_b64 exec, s[78:79]                                   // 000000005AC8: BEFE014E
	buffer_load_dword v40, v252, s[20:23], 0 idxen             // 000000005ACC: E0502000 800528FC
	s_mov_b64 exec, s[84:85]                                   // 000000005AD4: BEFE0154
	v_mov_b32_e32 v41, 0                                       // 000000005AD8: 7E520280
	s_mov_b64 exec, s[78:79]                                   // 000000005ADC: BEFE014E
	buffer_load_dword v41, v253, s[20:23], 0 idxen             // 000000005AE0: E0502000 800529FD
	s_mov_b64 exec, s[84:85]                                   // 000000005AE8: BEFE0154
	v_mov_b32_e32 v42, 0                                       // 000000005AEC: 7E540280
	s_mov_b64 exec, s[78:79]                                   // 000000005AF0: BEFE014E
	buffer_load_dword v42, v254, s[20:23], 0 idxen             // 000000005AF4: E0502000 80052AFE
	s_mov_b64 exec, s[84:85]                                   // 000000005AFC: BEFE0154
	v_mov_b32_e32 v43, 0                                       // 000000005B00: 7E560280
	s_mov_b64 exec, s[78:79]                                   // 000000005B04: BEFE014E
	buffer_load_dword v43, v255, s[20:23], 0 idxen             // 000000005B08: E0502000 80052BFF
	s_mov_b64 exec, s[84:85]                                   // 000000005B10: BEFE0154
	s_waitcnt lgkmcnt(0)                                       // 000000005B14: BF8CC07F
	s_barrier                                                  // 000000005B18: BF8A0000
	ds_read_b128 a[96:99], v22                                 // 000000005B1C: DBFE0000 60000016
	ds_read_b128 a[100:103], v22 offset:512                    // 000000005B24: DBFE0200 64000016
	ds_read_b128 a[104:107], v22 offset:2176                   // 000000005B2C: DBFE0880 68000016
	ds_read_b128 a[108:111], v22 offset:2688                   // 000000005B34: DBFE0A80 6C000016
	v_add_u32_e32 v1, s68, v1                                  // 000000005B3C: 68020244
	v_add_u32_e32 v2, s68, v2                                  // 000000005B40: 68040444
	v_add_u32_e32 v3, s68, v3                                  // 000000005B44: 68060644
	v_add_u32_e32 v4, s68, v4                                  // 000000005B48: 68080844
	v_add_u32_e32 v252, s101, v252                             // 000000005B4C: 69F9F865
	v_add_u32_e32 v253, s101, v253                             // 000000005B50: 69FBFA65
	v_add_u32_e32 v254, s101, v254                             // 000000005B54: 69FDFC65
	v_add_u32_e32 v255, s101, v255                             // 000000005B58: 69FFFE65
	s_waitcnt vmcnt(24) lgkmcnt(0)                             // 000000005B5C: BF8C4078
	s_barrier                                                  // 000000005B60: BF8A0000
	s_cmp_lt_i32 1, s73                                        // 000000005B64: BF044981
	s_cbranch_scc1 label_076B                                  // 000000005B68: BF850010
	v_mov_b32_e32 v168, 0                                      // 000000005B6C: 7F500280
	v_mov_b32_e32 v169, 0                                      // 000000005B70: 7F520280
	v_mov_b32_e32 v170, 0                                      // 000000005B74: 7F540280
	v_mov_b32_e32 v171, 0                                      // 000000005B78: 7F560280
	v_mov_b32_e32 v172, 0                                      // 000000005B7C: 7F580280
	v_mov_b32_e32 v173, 0                                      // 000000005B80: 7F5A0280
	v_mov_b32_e32 v174, 0                                      // 000000005B84: 7F5C0280
	v_mov_b32_e32 v175, 0                                      // 000000005B88: 7F5E0280
	v_mov_b32_e32 v176, 0                                      // 000000005B8C: 7F600280
	v_mov_b32_e32 v177, 0                                      // 000000005B90: 7F620280
	v_mov_b32_e32 v178, 0                                      // 000000005B94: 7F640280
	v_mov_b32_e32 v179, 0                                      // 000000005B98: 7F660280
	v_mov_b32_e32 v180, 0                                      // 000000005B9C: 7F680280
	v_mov_b32_e32 v181, 0                                      // 000000005BA0: 7F6A0280
	v_mov_b32_e32 v182, 0                                      // 000000005BA4: 7F6C0280
	v_mov_b32_e32 v183, 0                                      // 000000005BA8: 7F6E0280

0000000000005bac <label_076B>:
	ds_write_b32 v11, v168                                     // 000000005BAC: D81A0000 0000A80B
	ds_write_b32 v11, v169 offset:1056                         // 000000005BB4: D81A0420 0000A90B
	ds_write_b32 v11, v170 offset:128                          // 000000005BBC: D81A0080 0000AA0B
	ds_write_b32 v11, v171 offset:1184                         // 000000005BC4: D81A04A0 0000AB0B
	ds_write_b32 v11, v172 offset:4352                         // 000000005BCC: D81A1100 0000AC0B
	ds_write_b32 v11, v173 offset:5408                         // 000000005BD4: D81A1520 0000AD0B
	ds_write_b32 v11, v174 offset:4480                         // 000000005BDC: D81A1180 0000AE0B
	ds_write_b32 v11, v175 offset:5536                         // 000000005BE4: D81A15A0 0000AF0B
	ds_write_b32 v11, v176 offset:8704                         // 000000005BEC: D81A2200 0000B00B
	ds_write_b32 v11, v177 offset:9760                         // 000000005BF4: D81A2620 0000B10B
	ds_write_b32 v11, v178 offset:8832                         // 000000005BFC: D81A2280 0000B20B
	ds_write_b32 v11, v179 offset:9888                         // 000000005C04: D81A26A0 0000B30B
	ds_write_b32 v11, v180 offset:13056                        // 000000005C0C: D81A3300 0000B40B
	ds_write_b32 v11, v181 offset:14112                        // 000000005C14: D81A3720 0000B50B
	ds_write_b32 v11, v182 offset:13184                        // 000000005C1C: D81A3380 0000B60B
	ds_write_b32 v11, v183 offset:14240                        // 000000005C24: D81A37A0 0000B70B
	v_mov_b32_e32 v36, 0                                       // 000000005C2C: 7E480280
	s_mov_b64 exec, s[78:79]                                   // 000000005C30: BEFE014E
	buffer_load_dword v36, v1, s[8:11], 0 idxen                // 000000005C34: E0502000 80022401
	s_mov_b64 exec, s[84:85]                                   // 000000005C3C: BEFE0154
	v_mov_b32_e32 v37, 0                                       // 000000005C40: 7E4A0280
	s_mov_b64 exec, s[78:79]                                   // 000000005C44: BEFE014E
	buffer_load_dword v37, v2, s[8:11], 0 idxen                // 000000005C48: E0502000 80022502
	s_mov_b64 exec, s[84:85]                                   // 000000005C50: BEFE0154
	v_mov_b32_e32 v38, 0                                       // 000000005C54: 7E4C0280
	s_mov_b64 exec, s[78:79]                                   // 000000005C58: BEFE014E
	buffer_load_dword v38, v3, s[8:11], 0 idxen                // 000000005C5C: E0502000 80022603
	s_mov_b64 exec, s[84:85]                                   // 000000005C64: BEFE0154
	v_mov_b32_e32 v39, 0                                       // 000000005C68: 7E4E0280
	s_mov_b64 exec, s[78:79]                                   // 000000005C6C: BEFE014E
	buffer_load_dword v39, v4, s[8:11], 0 idxen                // 000000005C70: E0502000 80022704
	s_mov_b64 exec, s[84:85]                                   // 000000005C78: BEFE0154
	v_mov_b32_e32 v44, 0                                       // 000000005C7C: 7E580280
	s_mov_b64 exec, s[78:79]                                   // 000000005C80: BEFE014E
	buffer_load_dword v44, v252, s[20:23], 0 idxen             // 000000005C84: E0502000 80052CFC
	s_mov_b64 exec, s[84:85]                                   // 000000005C8C: BEFE0154
	v_mov_b32_e32 v45, 0                                       // 000000005C90: 7E5A0280
	s_mov_b64 exec, s[78:79]                                   // 000000005C94: BEFE014E
	buffer_load_dword v45, v253, s[20:23], 0 idxen             // 000000005C98: E0502000 80052DFD
	s_mov_b64 exec, s[84:85]                                   // 000000005CA0: BEFE0154
	v_mov_b32_e32 v46, 0                                       // 000000005CA4: 7E5C0280
	s_mov_b64 exec, s[78:79]                                   // 000000005CA8: BEFE014E
	buffer_load_dword v46, v254, s[20:23], 0 idxen             // 000000005CAC: E0502000 80052EFE
	s_mov_b64 exec, s[84:85]                                   // 000000005CB4: BEFE0154
	v_mov_b32_e32 v47, 0                                       // 000000005CB8: 7E5E0280
	s_mov_b64 exec, s[78:79]                                   // 000000005CBC: BEFE014E
	buffer_load_dword v47, v255, s[20:23], 0 idxen             // 000000005CC0: E0502000 80052FFF
	s_mov_b64 exec, s[84:85]                                   // 000000005CC8: BEFE0154
	s_waitcnt lgkmcnt(0)                                       // 000000005CCC: BF8CC07F
	s_barrier                                                  // 000000005CD0: BF8A0000
	ds_read_b128 a[112:115], v22                               // 000000005CD4: DBFE0000 70000016
	ds_read_b128 a[116:119], v22 offset:512                    // 000000005CDC: DBFE0200 74000016
	ds_read_b128 a[120:123], v22 offset:2176                   // 000000005CE4: DBFE0880 78000016
	ds_read_b128 a[124:127], v22 offset:2688                   // 000000005CEC: DBFE0A80 7C000016
	v_add_u32_e32 v1, s68, v1                                  // 000000005CF4: 68020244
	v_add_u32_e32 v2, s68, v2                                  // 000000005CF8: 68040444
	v_add_u32_e32 v3, s68, v3                                  // 000000005CFC: 68060644
	v_add_u32_e32 v4, s68, v4                                  // 000000005D00: 68080844
	v_add_u32_e32 v252, s101, v252                             // 000000005D04: 69F9F865
	v_add_u32_e32 v253, s101, v253                             // 000000005D08: 69FBFA65
	v_add_u32_e32 v254, s101, v254                             // 000000005D0C: 69FDFC65
	v_add_u32_e32 v255, s101, v255                             // 000000005D10: 69FFFE65
	s_waitcnt vmcnt(16) lgkmcnt(0)                             // 000000005D14: BF8C4070
	s_barrier                                                  // 000000005D18: BF8A0000
	s_cmp_lt_i32 2, s73                                        // 000000005D1C: BF044982
	s_cbranch_scc1 label_07D9                                  // 000000005D20: BF850010
	v_mov_b32_e32 v184, 0                                      // 000000005D24: 7F700280
	v_mov_b32_e32 v185, 0                                      // 000000005D28: 7F720280
	v_mov_b32_e32 v186, 0                                      // 000000005D2C: 7F740280
	v_mov_b32_e32 v187, 0                                      // 000000005D30: 7F760280
	v_mov_b32_e32 v188, 0                                      // 000000005D34: 7F780280
	v_mov_b32_e32 v189, 0                                      // 000000005D38: 7F7A0280
	v_mov_b32_e32 v190, 0                                      // 000000005D3C: 7F7C0280
	v_mov_b32_e32 v191, 0                                      // 000000005D40: 7F7E0280
	v_mov_b32_e32 v192, 0                                      // 000000005D44: 7F800280
	v_mov_b32_e32 v193, 0                                      // 000000005D48: 7F820280
	v_mov_b32_e32 v194, 0                                      // 000000005D4C: 7F840280
	v_mov_b32_e32 v195, 0                                      // 000000005D50: 7F860280
	v_mov_b32_e32 v196, 0                                      // 000000005D54: 7F880280
	v_mov_b32_e32 v197, 0                                      // 000000005D58: 7F8A0280
	v_mov_b32_e32 v198, 0                                      // 000000005D5C: 7F8C0280
	v_mov_b32_e32 v199, 0                                      // 000000005D60: 7F8E0280

0000000000005d64 <label_07D9>:
	ds_write_b32 v11, v184                                     // 000000005D64: D81A0000 0000B80B
	ds_write_b32 v11, v185 offset:1056                         // 000000005D6C: D81A0420 0000B90B
	ds_write_b32 v11, v186 offset:128                          // 000000005D74: D81A0080 0000BA0B
	ds_write_b32 v11, v187 offset:1184                         // 000000005D7C: D81A04A0 0000BB0B
	ds_write_b32 v11, v188 offset:4352                         // 000000005D84: D81A1100 0000BC0B
	ds_write_b32 v11, v189 offset:5408                         // 000000005D8C: D81A1520 0000BD0B
	ds_write_b32 v11, v190 offset:4480                         // 000000005D94: D81A1180 0000BE0B
	ds_write_b32 v11, v191 offset:5536                         // 000000005D9C: D81A15A0 0000BF0B
	ds_write_b32 v11, v192 offset:8704                         // 000000005DA4: D81A2200 0000C00B
	ds_write_b32 v11, v193 offset:9760                         // 000000005DAC: D81A2620 0000C10B
	ds_write_b32 v11, v194 offset:8832                         // 000000005DB4: D81A2280 0000C20B
	ds_write_b32 v11, v195 offset:9888                         // 000000005DBC: D81A26A0 0000C30B
	ds_write_b32 v11, v196 offset:13056                        // 000000005DC4: D81A3300 0000C40B
	ds_write_b32 v11, v197 offset:14112                        // 000000005DCC: D81A3720 0000C50B
	ds_write_b32 v11, v198 offset:13184                        // 000000005DD4: D81A3380 0000C60B
	ds_write_b32 v11, v199 offset:14240                        // 000000005DDC: D81A37A0 0000C70B
	s_waitcnt lgkmcnt(0)                                       // 000000005DE4: BF8CC07F
	s_barrier                                                  // 000000005DE8: BF8A0000
	ds_read_b128 a[128:131], v22                               // 000000005DEC: DBFE0000 80000016
	ds_read_b128 a[132:135], v22 offset:512                    // 000000005DF4: DBFE0200 84000016
	ds_read_b128 a[136:139], v22 offset:2176                   // 000000005DFC: DBFE0880 88000016
	ds_read_b128 a[140:143], v22 offset:2688                   // 000000005E04: DBFE0A80 8C000016
	s_waitcnt vmcnt(8) lgkmcnt(0)                              // 000000005E0C: BF8C0078
	s_barrier                                                  // 000000005E10: BF8A0000
	buffer_load_dword v9, s[24:27], 0 idxen lds                // 000000005E14: E0512000 80060009
	s_mov_b32 m0, s77                                          // 000000005E1C: BEFC004D
	v_add_u32_e32 v9, s69, v9                                  // 000000005E20: 68121245
	v_perm_b32 v84, v33, v32, s63                              // 000000005E24: D1ED0054 00FE4121
	v_perm_b32 v85, v33, v32, s64                              // 000000005E2C: D1ED0055 01024121
	v_perm_b32 v86, v35, v34, s63                              // 000000005E34: D1ED0056 00FE4523
	v_perm_b32 v87, v35, v34, s64                              // 000000005E3C: D1ED0057 01024523
	ds_write_b32 v13, v84 offset:4352                          // 000000005E44: D81A1100 0000540D
	ds_write_b32 v13, v85 offset:5408                          // 000000005E4C: D81A1520 0000550D
	ds_write_b32 v13, v86 offset:4480                          // 000000005E54: D81A1180 0000560D
	ds_write_b32 v13, v87 offset:5536                          // 000000005E5C: D81A15A0 0000570D
	ds_write_b32 v11, v32                                      // 000000005E64: D81A0000 0000200B
	ds_write_b32 v11, v33 offset:1056                          // 000000005E6C: D81A0420 0000210B
	ds_write_b32 v11, v34 offset:128                           // 000000005E74: D81A0080 0000220B
	ds_write_b32 v11, v35 offset:1184                          // 000000005E7C: D81A04A0 0000230B
	buffer_load_dword v9, s[24:27], 0 idxen lds                // 000000005E84: E0512000 80060009
	s_mov_b32 m0, s76                                          // 000000005E8C: BEFC004C
	v_add_u32_e32 v9, s69, v9                                  // 000000005E90: 68121245
	v_perm_b32 v88, v41, v40, s63                              // 000000005E94: D1ED0058 00FE5129
	v_perm_b32 v89, v41, v40, s64                              // 000000005E9C: D1ED0059 01025129
	v_perm_b32 v90, v43, v42, s63                              // 000000005EA4: D1ED005A 00FE552B
	v_perm_b32 v91, v43, v42, s64                              // 000000005EAC: D1ED005B 0102552B
	ds_write_b32 v13, v88 offset:13056                         // 000000005EB4: D81A3300 0000580D
	ds_write_b32 v13, v89 offset:14112                         // 000000005EBC: D81A3720 0000590D
	ds_write_b32 v13, v90 offset:13184                         // 000000005EC4: D81A3380 00005A0D
	ds_write_b32 v13, v91 offset:14240                         // 000000005ECC: D81A37A0 00005B0D
	ds_write_b32 v11, v40 offset:8704                          // 000000005ED4: D81A2200 0000280B
	ds_write_b32 v11, v41 offset:9760                          // 000000005EDC: D81A2620 0000290B
	ds_write_b32 v11, v42 offset:8832                          // 000000005EE4: D81A2280 00002A0B
	ds_write_b32 v11, v43 offset:9888                          // 000000005EEC: D81A26A0 00002B0B
	s_waitcnt vmcnt(1) lgkmcnt(0)                              // 000000005EF4: BF8C0071
	s_barrier                                                  // 000000005EF8: BF8A0000
	ds_read_b128 a[144:147], v10                               // 000000005EFC: DBFE0000 9000000A
	ds_read_b128 a[148:151], v10 offset:512                    // 000000005F04: DBFE0200 9400000A
	ds_read_b128 a[152:155], v10 offset:2176                   // 000000005F0C: DBFE0880 9800000A
	ds_read_b128 a[156:159], v10 offset:2688                   // 000000005F14: DBFE0A80 9C00000A
	ds_read_b128 v[92:95], v10 offset:8704                     // 000000005F1C: D9FE2200 5C00000A
	ds_read_b128 v[96:99], v10 offset:9216                     // 000000005F24: D9FE2400 6000000A
	ds_read_b128 v[100:103], v10 offset:10880                  // 000000005F2C: D9FE2A80 6400000A
	ds_read_b128 v[104:107], v10 offset:11392                  // 000000005F34: D9FE2C80 6800000A
	ds_read_b32 v124, v21 offset:50688                         // 000000005F3C: D86CC600 7C000015
	ds_read_b32 v150, v21 offset:50944                         // 000000005F44: D86CC700 96000015
	v_accvgpr_write_b32 a160, 0                                // 000000005F4C: D3D940A0 18000080
	v_mov_b32_e32 v152, 0                                      // 000000005F54: 7F300280
	v_accvgpr_write_b32 a161, 0                                // 000000005F58: D3D940A1 18000080
	v_mov_b32_e32 v153, 0                                      // 000000005F60: 7F320280
	v_accvgpr_write_b32 a162, 0                                // 000000005F64: D3D940A2 18000080
	v_mov_b32_e32 v154, 0                                      // 000000005F6C: 7F340280
	v_accvgpr_write_b32 a163, 0                                // 000000005F70: D3D940A3 18000080
	v_mov_b32_e32 v155, 0                                      // 000000005F78: 7F360280
	v_accvgpr_write_b32 a164, 0                                // 000000005F7C: D3D940A4 18000080
	v_mov_b32_e32 v156, 0                                      // 000000005F84: 7F380280
	v_accvgpr_write_b32 a165, 0                                // 000000005F88: D3D940A5 18000080
	v_mov_b32_e32 v157, 0                                      // 000000005F90: 7F3A0280
	v_accvgpr_write_b32 a166, 0                                // 000000005F94: D3D940A6 18000080
	v_mov_b32_e32 v158, 0                                      // 000000005F9C: 7F3C0280
	v_accvgpr_write_b32 a167, 0                                // 000000005FA0: D3D940A7 18000080
	v_mov_b32_e32 v159, 0                                      // 000000005FA8: 7F3E0280
	v_accvgpr_write_b32 a168, 0                                // 000000005FAC: D3D940A8 18000080
	v_mov_b32_e32 v160, 0                                      // 000000005FB4: 7F400280
	v_accvgpr_write_b32 a169, 0                                // 000000005FB8: D3D940A9 18000080
	v_mov_b32_e32 v161, 0                                      // 000000005FC0: 7F420280
	v_accvgpr_write_b32 a170, 0                                // 000000005FC4: D3D940AA 18000080
	v_mov_b32_e32 v162, 0                                      // 000000005FCC: 7F440280
	v_accvgpr_write_b32 a171, 0                                // 000000005FD0: D3D940AB 18000080
	v_mov_b32_e32 v163, 0                                      // 000000005FD8: 7F460280
	v_accvgpr_write_b32 a172, 0                                // 000000005FDC: D3D940AC 18000080
	v_mov_b32_e32 v164, 0                                      // 000000005FE4: 7F480280
	v_accvgpr_write_b32 a173, 0                                // 000000005FE8: D3D940AD 18000080
	v_mov_b32_e32 v165, 0                                      // 000000005FF0: 7F4A0280
	v_accvgpr_write_b32 a174, 0                                // 000000005FF4: D3D940AE 18000080
	v_mov_b32_e32 v166, 0                                      // 000000005FFC: 7F4C0280
	v_accvgpr_write_b32 a175, 0                                // 000000006000: D3D940AF 18000080
	v_mov_b32_e32 v167, 0                                      // 000000006008: 7F4E0280
	v_accvgpr_write_b32 a176, 0                                // 00000000600C: D3D940B0 18000080
	v_mov_b32_e32 v168, 0                                      // 000000006014: 7F500280
	v_accvgpr_write_b32 a177, 0                                // 000000006018: D3D940B1 18000080
	v_mov_b32_e32 v169, 0                                      // 000000006020: 7F520280
	v_accvgpr_write_b32 a178, 0                                // 000000006024: D3D940B2 18000080
	v_mov_b32_e32 v170, 0                                      // 00000000602C: 7F540280
	v_accvgpr_write_b32 a179, 0                                // 000000006030: D3D940B3 18000080
	v_mov_b32_e32 v171, 0                                      // 000000006038: 7F560280
	v_accvgpr_write_b32 a180, 0                                // 00000000603C: D3D940B4 18000080
	v_mov_b32_e32 v172, 0                                      // 000000006044: 7F580280
	v_accvgpr_write_b32 a181, 0                                // 000000006048: D3D940B5 18000080
	v_mov_b32_e32 v173, 0                                      // 000000006050: 7F5A0280
	v_accvgpr_write_b32 a182, 0                                // 000000006054: D3D940B6 18000080
	v_mov_b32_e32 v174, 0                                      // 00000000605C: 7F5C0280
	v_accvgpr_write_b32 a183, 0                                // 000000006060: D3D940B7 18000080
	v_mov_b32_e32 v175, 0                                      // 000000006068: 7F5E0280
	v_accvgpr_write_b32 a184, 0                                // 00000000606C: D3D940B8 18000080
	v_mov_b32_e32 v176, 0                                      // 000000006074: 7F600280
	v_accvgpr_write_b32 a185, 0                                // 000000006078: D3D940B9 18000080
	v_mov_b32_e32 v177, 0                                      // 000000006080: 7F620280
	v_accvgpr_write_b32 a186, 0                                // 000000006084: D3D940BA 18000080
	v_mov_b32_e32 v178, 0                                      // 00000000608C: 7F640280
	v_accvgpr_write_b32 a187, 0                                // 000000006090: D3D940BB 18000080
	v_mov_b32_e32 v179, 0                                      // 000000006098: 7F660280
	v_accvgpr_write_b32 a188, 0                                // 00000000609C: D3D940BC 18000080
	v_mov_b32_e32 v180, 0                                      // 0000000060A4: 7F680280
	v_accvgpr_write_b32 a189, 0                                // 0000000060A8: D3D940BD 18000080
	v_mov_b32_e32 v181, 0                                      // 0000000060B0: 7F6A0280
	v_accvgpr_write_b32 a190, 0                                // 0000000060B4: D3D940BE 18000080
	v_mov_b32_e32 v182, 0                                      // 0000000060BC: 7F6C0280
	v_accvgpr_write_b32 a191, 0                                // 0000000060C0: D3D940BF 18000080
	v_mov_b32_e32 v183, 0                                      // 0000000060C8: 7F6E0280
	v_accvgpr_write_b32 a192, 0                                // 0000000060CC: D3D940C0 18000080
	v_mov_b32_e32 v184, 0                                      // 0000000060D4: 7F700280
	v_accvgpr_write_b32 a193, 0                                // 0000000060D8: D3D940C1 18000080
	v_mov_b32_e32 v185, 0                                      // 0000000060E0: 7F720280
	v_accvgpr_write_b32 a194, 0                                // 0000000060E4: D3D940C2 18000080
	v_mov_b32_e32 v186, 0                                      // 0000000060EC: 7F740280
	v_accvgpr_write_b32 a195, 0                                // 0000000060F0: D3D940C3 18000080
	v_mov_b32_e32 v187, 0                                      // 0000000060F8: 7F760280
	v_accvgpr_write_b32 a196, 0                                // 0000000060FC: D3D940C4 18000080
	v_mov_b32_e32 v188, 0                                      // 000000006104: 7F780280
	v_accvgpr_write_b32 a197, 0                                // 000000006108: D3D940C5 18000080
	v_mov_b32_e32 v189, 0                                      // 000000006110: 7F7A0280
	v_accvgpr_write_b32 a198, 0                                // 000000006114: D3D940C6 18000080
	v_mov_b32_e32 v190, 0                                      // 00000000611C: 7F7C0280
	v_accvgpr_write_b32 a199, 0                                // 000000006120: D3D940C7 18000080
	v_mov_b32_e32 v191, 0                                      // 000000006128: 7F7E0280
	v_accvgpr_write_b32 a200, 0                                // 00000000612C: D3D940C8 18000080
	v_mov_b32_e32 v192, 0                                      // 000000006134: 7F800280
	v_accvgpr_write_b32 a201, 0                                // 000000006138: D3D940C9 18000080
	v_mov_b32_e32 v193, 0                                      // 000000006140: 7F820280
	v_accvgpr_write_b32 a202, 0                                // 000000006144: D3D940CA 18000080
	v_mov_b32_e32 v194, 0                                      // 00000000614C: 7F840280
	v_accvgpr_write_b32 a203, 0                                // 000000006150: D3D940CB 18000080
	v_mov_b32_e32 v195, 0                                      // 000000006158: 7F860280
	v_accvgpr_write_b32 a204, 0                                // 00000000615C: D3D940CC 18000080
	v_mov_b32_e32 v196, 0                                      // 000000006164: 7F880280
	v_accvgpr_write_b32 a205, 0                                // 000000006168: D3D940CD 18000080
	v_mov_b32_e32 v197, 0                                      // 000000006170: 7F8A0280
	v_accvgpr_write_b32 a206, 0                                // 000000006174: D3D940CE 18000080
	v_mov_b32_e32 v198, 0                                      // 00000000617C: 7F8C0280
	v_accvgpr_write_b32 a207, 0                                // 000000006180: D3D940CF 18000080
	v_mov_b32_e32 v199, 0                                      // 000000006188: 7F8E0280
	v_accvgpr_write_b32 a208, 0                                // 00000000618C: D3D940D0 18000080
	v_mov_b32_e32 v200, 0                                      // 000000006194: 7F900280
	v_accvgpr_write_b32 a209, 0                                // 000000006198: D3D940D1 18000080
	v_mov_b32_e32 v201, 0                                      // 0000000061A0: 7F920280
	v_accvgpr_write_b32 a210, 0                                // 0000000061A4: D3D940D2 18000080
	v_mov_b32_e32 v202, 0                                      // 0000000061AC: 7F940280
	v_accvgpr_write_b32 a211, 0                                // 0000000061B0: D3D940D3 18000080
	v_mov_b32_e32 v203, 0                                      // 0000000061B8: 7F960280
	v_accvgpr_write_b32 a212, 0                                // 0000000061BC: D3D940D4 18000080
	v_mov_b32_e32 v204, 0                                      // 0000000061C4: 7F980280
	v_accvgpr_write_b32 a213, 0                                // 0000000061C8: D3D940D5 18000080
	v_mov_b32_e32 v205, 0                                      // 0000000061D0: 7F9A0280
	v_accvgpr_write_b32 a214, 0                                // 0000000061D4: D3D940D6 18000080
	v_mov_b32_e32 v206, 0                                      // 0000000061DC: 7F9C0280
	v_accvgpr_write_b32 a215, 0                                // 0000000061E0: D3D940D7 18000080
	v_mov_b32_e32 v207, 0                                      // 0000000061E8: 7F9E0280
	v_accvgpr_write_b32 a216, 0                                // 0000000061EC: D3D940D8 18000080
	v_mov_b32_e32 v208, 0                                      // 0000000061F4: 7FA00280
	v_accvgpr_write_b32 a217, 0                                // 0000000061F8: D3D940D9 18000080
	v_mov_b32_e32 v209, 0                                      // 000000006200: 7FA20280
	v_accvgpr_write_b32 a218, 0                                // 000000006204: D3D940DA 18000080
	v_mov_b32_e32 v210, 0                                      // 00000000620C: 7FA40280
	v_accvgpr_write_b32 a219, 0                                // 000000006210: D3D940DB 18000080
	v_mov_b32_e32 v211, 0                                      // 000000006218: 7FA60280
	v_accvgpr_write_b32 a220, 0                                // 00000000621C: D3D940DC 18000080
	v_mov_b32_e32 v212, 0                                      // 000000006224: 7FA80280
	v_accvgpr_write_b32 a221, 0                                // 000000006228: D3D940DD 18000080
	v_mov_b32_e32 v213, 0                                      // 000000006230: 7FAA0280
	v_accvgpr_write_b32 a222, 0                                // 000000006234: D3D940DE 18000080
	v_mov_b32_e32 v214, 0                                      // 00000000623C: 7FAC0280
	v_accvgpr_write_b32 a223, 0                                // 000000006240: D3D940DF 18000080
	v_mov_b32_e32 v215, 0                                      // 000000006248: 7FAE0280
	v_accvgpr_write_b32 a224, 0                                // 00000000624C: D3D940E0 18000080
	v_mov_b32_e32 v216, 0                                      // 000000006254: 7FB00280
	v_accvgpr_write_b32 a225, 0                                // 000000006258: D3D940E1 18000080
	v_mov_b32_e32 v217, 0                                      // 000000006260: 7FB20280
	v_accvgpr_write_b32 a226, 0                                // 000000006264: D3D940E2 18000080
	v_mov_b32_e32 v218, 0                                      // 00000000626C: 7FB40280
	v_accvgpr_write_b32 a227, 0                                // 000000006270: D3D940E3 18000080
	v_mov_b32_e32 v219, 0                                      // 000000006278: 7FB60280
	v_accvgpr_write_b32 a228, 0                                // 00000000627C: D3D940E4 18000080
	v_mov_b32_e32 v220, 0                                      // 000000006284: 7FB80280
	v_accvgpr_write_b32 a229, 0                                // 000000006288: D3D940E5 18000080
	v_mov_b32_e32 v221, 0                                      // 000000006290: 7FBA0280
	v_accvgpr_write_b32 a230, 0                                // 000000006294: D3D940E6 18000080
	v_mov_b32_e32 v222, 0                                      // 00000000629C: 7FBC0280
	v_accvgpr_write_b32 a231, 0                                // 0000000062A0: D3D940E7 18000080
	v_mov_b32_e32 v223, 0                                      // 0000000062A8: 7FBE0280
	v_accvgpr_write_b32 a232, 0                                // 0000000062AC: D3D940E8 18000080
	v_mov_b32_e32 v224, 0                                      // 0000000062B4: 7FC00280
	v_accvgpr_write_b32 a233, 0                                // 0000000062B8: D3D940E9 18000080
	v_mov_b32_e32 v225, 0                                      // 0000000062C0: 7FC20280
	v_accvgpr_write_b32 a234, 0                                // 0000000062C4: D3D940EA 18000080
	v_mov_b32_e32 v226, 0                                      // 0000000062CC: 7FC40280
	v_accvgpr_write_b32 a235, 0                                // 0000000062D0: D3D940EB 18000080
	v_mov_b32_e32 v227, 0                                      // 0000000062D8: 7FC60280
	v_accvgpr_write_b32 a236, 0                                // 0000000062DC: D3D940EC 18000080
	v_mov_b32_e32 v228, 0                                      // 0000000062E4: 7FC80280
	v_accvgpr_write_b32 a237, 0                                // 0000000062E8: D3D940ED 18000080
	v_mov_b32_e32 v229, 0                                      // 0000000062F0: 7FCA0280
	v_accvgpr_write_b32 a238, 0                                // 0000000062F4: D3D940EE 18000080
	v_mov_b32_e32 v230, 0                                      // 0000000062FC: 7FCC0280
	v_accvgpr_write_b32 a239, 0                                // 000000006300: D3D940EF 18000080
	v_mov_b32_e32 v231, 0                                      // 000000006308: 7FCE0280
	v_accvgpr_write_b32 a240, 0                                // 00000000630C: D3D940F0 18000080
	v_mov_b32_e32 v232, 0                                      // 000000006314: 7FD00280
	v_accvgpr_write_b32 a241, 0                                // 000000006318: D3D940F1 18000080
	v_mov_b32_e32 v233, 0                                      // 000000006320: 7FD20280
	v_accvgpr_write_b32 a242, 0                                // 000000006324: D3D940F2 18000080
	v_mov_b32_e32 v234, 0                                      // 00000000632C: 7FD40280
	v_accvgpr_write_b32 a243, 0                                // 000000006330: D3D940F3 18000080
	v_mov_b32_e32 v235, 0                                      // 000000006338: 7FD60280
	v_accvgpr_write_b32 a244, 0                                // 00000000633C: D3D940F4 18000080
	v_mov_b32_e32 v236, 0                                      // 000000006344: 7FD80280
	v_accvgpr_write_b32 a245, 0                                // 000000006348: D3D940F5 18000080
	v_mov_b32_e32 v237, 0                                      // 000000006350: 7FDA0280
	v_accvgpr_write_b32 a246, 0                                // 000000006354: D3D940F6 18000080
	v_mov_b32_e32 v238, 0                                      // 00000000635C: 7FDC0280
	v_accvgpr_write_b32 a247, 0                                // 000000006360: D3D940F7 18000080
	v_mov_b32_e32 v239, 0                                      // 000000006368: 7FDE0280
	v_accvgpr_write_b32 a248, 0                                // 00000000636C: D3D940F8 18000080
	v_mov_b32_e32 v240, 0                                      // 000000006374: 7FE00280
	v_accvgpr_write_b32 a249, 0                                // 000000006378: D3D940F9 18000080
	v_mov_b32_e32 v241, 0                                      // 000000006380: 7FE20280
	v_accvgpr_write_b32 a250, 0                                // 000000006384: D3D940FA 18000080
	v_mov_b32_e32 v242, 0                                      // 00000000638C: 7FE40280
	v_accvgpr_write_b32 a251, 0                                // 000000006390: D3D940FB 18000080
	v_mov_b32_e32 v243, 0                                      // 000000006398: 7FE60280
	v_accvgpr_write_b32 a252, 0                                // 00000000639C: D3D940FC 18000080
	v_mov_b32_e32 v244, 0                                      // 0000000063A4: 7FE80280
	v_accvgpr_write_b32 a253, 0                                // 0000000063A8: D3D940FD 18000080
	v_mov_b32_e32 v245, 0                                      // 0000000063B0: 7FEA0280
	v_accvgpr_write_b32 a254, 0                                // 0000000063B4: D3D940FE 18000080
	v_mov_b32_e32 v246, 0                                      // 0000000063BC: 7FEC0280
	v_accvgpr_write_b32 a255, 0                                // 0000000063C0: D3D940FF 18000080
	v_mov_b32_e32 v247, 0                                      // 0000000063C8: 7FEE0280
	v_mov_b32_e32 v136, 0                                      // 0000000063CC: 7F100280
	v_mov_b32_e32 v137, 0                                      // 0000000063D0: 7F120280
	v_mov_b32_e32 v138, 0                                      // 0000000063D4: 7F140280
	v_mov_b32_e32 v139, 0                                      // 0000000063D8: 7F160280
	v_mov_b32_e32 v140, 0                                      // 0000000063DC: 7F180280
	v_mov_b32_e32 v141, 0                                      // 0000000063E0: 7F1A0280
	v_mov_b32_e32 v142, 0                                      // 0000000063E4: 7F1C0280
	v_mov_b32_e32 v143, 0                                      // 0000000063E8: 7F1E0280
	v_mov_b32_e32 v128, 0                                      // 0000000063EC: 7F000280
	v_mov_b32_e32 v129, 0                                      // 0000000063F0: 7F020280
	v_mov_b32_e32 v130, 0                                      // 0000000063F4: 7F040280
	v_mov_b32_e32 v131, 0                                      // 0000000063F8: 7F060280
	v_mov_b32_e32 v132, 0                                      // 0000000063FC: 7F080280
	v_mov_b32_e32 v133, 0                                      // 000000006400: 7F0A0280
	v_mov_b32_e32 v134, 0                                      // 000000006404: 7F0C0280
	v_mov_b32_e32 v135, 0                                      // 000000006408: 7F0E0280
	s_waitcnt lgkmcnt(0)                                       // 00000000640C: BF8CC07F
	s_barrier                                                  // 000000006410: BF8A0000
	v_mov_b32_e32 v32, 0                                       // 000000006414: 7E400280
	s_mov_b64 exec, s[78:79]                                   // 000000006418: BEFE014E
	buffer_load_dword v32, v1, s[8:11], 0 idxen                // 00000000641C: E0502000 80022001
	s_mov_b64 exec, s[84:85]                                   // 000000006424: BEFE0154
	v_mov_b32_e32 v33, 0                                       // 000000006428: 7E420280
	s_mov_b64 exec, s[78:79]                                   // 00000000642C: BEFE014E
	buffer_load_dword v33, v2, s[8:11], 0 idxen                // 000000006430: E0502000 80022102
	s_mov_b64 exec, s[84:85]                                   // 000000006438: BEFE0154
	v_mov_b32_e32 v34, 0                                       // 00000000643C: 7E440280
	s_mov_b64 exec, s[78:79]                                   // 000000006440: BEFE014E
	buffer_load_dword v34, v3, s[8:11], 0 idxen                // 000000006444: E0502000 80022203
	s_mov_b64 exec, s[84:85]                                   // 00000000644C: BEFE0154
	v_mov_b32_e32 v35, 0                                       // 000000006450: 7E460280
	s_mov_b64 exec, s[78:79]                                   // 000000006454: BEFE014E
	buffer_load_dword v35, v4, s[8:11], 0 idxen                // 000000006458: E0502000 80022304
	s_mov_b64 exec, s[84:85]                                   // 000000006460: BEFE0154
	v_mov_b32_e32 v40, 0                                       // 000000006464: 7E500280
	s_mov_b64 exec, s[78:79]                                   // 000000006468: BEFE014E
	buffer_load_dword v40, v252, s[20:23], 0 idxen             // 00000000646C: E0502000 800528FC
	s_mov_b64 exec, s[84:85]                                   // 000000006474: BEFE0154
	v_mov_b32_e32 v41, 0                                       // 000000006478: 7E520280
	s_mov_b64 exec, s[78:79]                                   // 00000000647C: BEFE014E
	buffer_load_dword v41, v253, s[20:23], 0 idxen             // 000000006480: E0502000 800529FD
	s_mov_b64 exec, s[84:85]                                   // 000000006488: BEFE0154
	v_mov_b32_e32 v42, 0                                       // 00000000648C: 7E540280
	s_mov_b64 exec, s[78:79]                                   // 000000006490: BEFE014E
	buffer_load_dword v42, v254, s[20:23], 0 idxen             // 000000006494: E0502000 80052AFE
	s_mov_b64 exec, s[84:85]                                   // 00000000649C: BEFE0154
	v_mov_b32_e32 v43, 0                                       // 0000000064A0: 7E560280
	s_mov_b64 exec, s[78:79]                                   // 0000000064A4: BEFE014E
	buffer_load_dword v43, v255, s[20:23], 0 idxen             // 0000000064A8: E0502000 80052BFF
	s_mov_b64 exec, s[84:85]                                   // 0000000064B0: BEFE0154
	buffer_load_dword v9, s[24:27], 0 idxen lds                // 0000000064B4: E0512000 80060009
	s_mov_b32 m0, s77                                          // 0000000064BC: BEFC004D
	v_add_u32_e32 v9, s69, v9                                  // 0000000064C0: 68121245
	v_add_u32_e32 v1, s68, v1                                  // 0000000064C4: 68020244
	v_add_u32_e32 v2, s68, v2                                  // 0000000064C8: 68040444
	v_add_u32_e32 v3, s68, v3                                  // 0000000064CC: 68060644
	v_add_u32_e32 v4, s68, v4                                  // 0000000064D0: 68080844
	v_add_u32_e32 v252, s101, v252                             // 0000000064D4: 69F9F865
	v_add_u32_e32 v253, s101, v253                             // 0000000064D8: 69FBFA65
	v_add_u32_e32 v254, s101, v254                             // 0000000064DC: 69FDFC65
	v_add_u32_e32 v255, s101, v255                             // 0000000064E0: 69FFFE65
	v_mul_f32_e32 v124, s48, v124                              // 0000000064E4: 0AF8F830
	v_perm_b32 v84, v37, v36, s63                              // 0000000064E8: D1ED0054 00FE4925
	v_perm_b32 v85, v37, v36, s64                              // 0000000064F0: D1ED0055 01024925
	v_perm_b32 v86, v39, v38, s63                              // 0000000064F8: D1ED0056 00FE4D27
	v_perm_b32 v87, v39, v38, s64                              // 000000006500: D1ED0057 01024D27
	v_perm_b32 v88, v45, v44, s63                              // 000000006508: D1ED0058 00FE592D
	v_perm_b32 v89, v45, v44, s64                              // 000000006510: D1ED0059 0102592D
	v_perm_b32 v90, v47, v46, s63                              // 000000006518: D1ED005A 00FE5D2F
	v_perm_b32 v91, v47, v46, s64                              // 000000006520: D1ED005B 01025D2F
	v_mov_b32_dpp v127, v124 quad_perm:[3,3,3,3] row_mask:0xf bank_mask:0xf// 000000006528: 7EFE02FA FF00FF7C
	v_mov_b32_dpp v126, v124 quad_perm:[2,2,2,2] row_mask:0xf bank_mask:0xf// 000000006530: 7EFC02FA FF00AA7C
	v_mov_b32_dpp v125, v124 quad_perm:[1,1,1,1] row_mask:0xf bank_mask:0xf// 000000006538: 7EFA02FA FF00557C
	v_mov_b32_dpp v124, v124 quad_perm:[0,0,0,0] row_mask:0xf bank_mask:0xf// 000000006540: 7EF802FA FF00007C
	s_waitcnt vmcnt(9)                                         // 000000006548: BF8C0F79
	s_barrier                                                  // 00000000654C: BF8A0000
	s_cmp_lt_i32 s46, 2                                        // 000000006550: BF04822E
	s_cbranch_scc0 label_0F30                                  // 000000006554: BF840550
	s_nop 0                                                    // 000000006558: BF800000
	s_nop 0                                                    // 00000000655C: BF800000

0000000000006560 <label_09D8>:
	s_waitcnt lgkmcnt(0)                                       // 000000006560: BF8CC07F
	s_barrier                                                  // 000000006564: BF8A0000
	v_mfma_f32_16x16x16_bf16 v[48:51], a[144:145], a[0:1], 0   // 000000006568: D3E10030 1A020190
	ds_write_b32 v11, v44 offset:8704                          // 000000006570: D81A2200 00002C0B
	ds_write_b32 v11, v45 offset:9760                          // 000000006578: D81A2620 00002D0B
	v_mfma_f32_16x16x16_bf16 v[48:51], a[146:147], a[2:3], v[48:51]// 000000006580: D3E10030 1CC20592
	v_mul_f32_e32 v128, s47, v128                              // 000000006588: 0B01002F
	v_mul_f32_e32 v129, s47, v129                              // 00000000658C: 0B03022F
	v_mfma_f32_16x16x16_bf16 v[48:51], a[148:149], a[4:5], v[48:51]// 000000006590: D3E10030 1CC20994
	ds_write_b32 v11, v46 offset:8832                          // 000000006598: D81A2280 00002E0B
	ds_write_b32 v11, v47 offset:9888                          // 0000000065A0: D81A26A0 00002F0B
	v_mfma_f32_16x16x16_bf16 v[48:51], a[150:151], a[6:7], v[48:51]// 0000000065A8: D3E10030 1CC20D96
	v_mul_f32_e32 v130, s47, v130                              // 0000000065B0: 0B05042F
	v_mul_f32_e32 v131, s47, v131                              // 0000000065B4: 0B07062F
	v_mfma_f32_16x16x16_bf16 v[48:51], a[152:153], a[8:9], v[48:51]// 0000000065B8: D3E10030 1CC21198
	ds_write_b64 v20, v[128:129] offset:24320                  // 0000000065C0: D89A5F00 00008014
	v_mfma_f32_16x16x16_bf16 v[48:51], a[154:155], a[10:11], v[48:51]// 0000000065C8: D3E10030 1CC2159A
	v_mul_f32_e32 v132, s47, v132                              // 0000000065D0: 0B09082F
	v_mul_f32_e32 v133, s47, v133                              // 0000000065D4: 0B0B0A2F
	v_mfma_f32_16x16x16_bf16 v[48:51], a[156:157], a[12:13], v[48:51]// 0000000065D8: D3E10030 1CC2199C
	ds_write_b64 v20, v[130:131] offset:24832                  // 0000000065E0: D89A6100 00008214
	v_mfma_f32_16x16x16_bf16 v[48:51], a[158:159], a[14:15], v[48:51]// 0000000065E8: D3E10030 1CC21D9E
	v_mul_f32_e32 v134, s47, v134                              // 0000000065F0: 0B0D0C2F
	v_mul_f32_e32 v135, s47, v135                              // 0000000065F4: 0B0F0E2F
	v_mfma_f32_16x16x16_bf16 v[52:55], a[144:145], a[16:17], 0 // 0000000065F8: D3E10034 1A022190
	ds_write_b64 v20, v[132:133] offset:25344                  // 000000006600: D89A6300 00008414
	v_mfma_f32_16x16x16_bf16 v[52:55], a[146:147], a[18:19], v[52:55]// 000000006608: D3E10034 1CD22592
	buffer_atomic_add_f32 v140, v7, s[32:35], 0 offen offset:256// 000000006610: E1341100 80088C07
	v_mfma_f32_16x16x16_bf16 v[52:55], a[148:149], a[20:21], v[52:55]// 000000006618: D3E10034 1CD22994
	ds_write_b64 v20, v[134:135] offset:25856                  // 000000006620: D89A6500 00008614
	v_mfma_f32_16x16x16_bf16 v[52:55], a[150:151], a[22:23], v[52:55]// 000000006628: D3E10034 1CD22D96
	v_mfma_f32_16x16x16_bf16 v[52:55], a[152:153], a[24:25], v[52:55]// 000000006630: D3E10034 1CD23198
	ds_read_b128 v[108:111], v12 offset:13056                  // 000000006638: D9FE3300 6C00000C
	ds_write_b32 v11, v36                                      // 000000006640: D81A0000 0000240B
	v_mfma_f32_16x16x16_bf16 v[52:55], a[154:155], a[26:27], v[52:55]// 000000006648: D3E10034 1CD2359A
	buffer_atomic_add_f32 v141, v8, s[32:35], 0 offen offset:256// 000000006650: E1341100 80088D08
	v_mfma_f32_16x16x16_bf16 v[52:55], a[156:157], a[28:29], v[52:55]// 000000006658: D3E10034 1CD2399C
	v_mfma_f32_16x16x16_bf16 v[52:55], a[158:159], a[30:31], v[52:55]// 000000006660: D3E10034 1CD23D9E
	ds_read_b128 v[112:115], v12 offset:13568                  // 000000006668: D9FE3500 7000000C
	ds_write_b32 v11, v37 offset:1056                          // 000000006670: D81A0420 0000250B
	v_mfma_f32_16x16x16_bf16 v[56:59], a[144:145], a[32:33], 0 // 000000006678: D3E10038 1A024190
	buffer_atomic_add_f32 v142, v7, s[32:35], 0 offen offset:384// 000000006680: E1341180 80088E07
	v_mfma_f32_16x16x16_bf16 v[56:59], a[146:147], a[34:35], v[56:59]// 000000006688: D3E10038 1CE24592
	v_mfma_f32_16x16x16_bf16 v[56:59], a[148:149], a[36:37], v[56:59]// 000000006690: D3E10038 1CE24994
	ds_read_b128 v[116:119], v12 offset:15232                  // 000000006698: D9FE3B80 7400000C
	ds_write_b32 v11, v38 offset:128                           // 0000000066A0: D81A0080 0000260B
	v_mfma_f32_16x16x16_bf16 v[56:59], a[150:151], a[38:39], v[56:59]// 0000000066A8: D3E10038 1CE24D96
	v_mfma_f32_16x16x16_bf16 v[56:59], a[152:153], a[40:41], v[56:59]// 0000000066B0: D3E10038 1CE25198
	buffer_atomic_add_f32 v143, v8, s[32:35], 0 offen offset:384// 0000000066B8: E1341180 80088F08
	v_mfma_f32_16x16x16_bf16 v[56:59], a[154:155], a[42:43], v[56:59]// 0000000066C0: D3E10038 1CE2559A
	ds_read_b128 v[120:123], v12 offset:15744                  // 0000000066C8: D9FE3D80 7800000C
	ds_write_b32 v11, v39 offset:1184                          // 0000000066D0: D81A04A0 0000270B
	v_mfma_f32_16x16x16_bf16 v[56:59], a[156:157], a[44:45], v[56:59]// 0000000066D8: D3E10038 1CE2599C
	v_mfma_f32_16x16x16_bf16 v[56:59], a[158:159], a[46:47], v[56:59]// 0000000066E0: D3E10038 1CE25D9E
	s_cmp_lt_i32 s81, 0xc0                                     // 0000000066E8: BF04FF51 000000C0
	s_cbranch_scc0 label_0A8F                                  // 0000000066F0: BF84004D
	s_cmp_le_i32 s81, 64                                       // 0000000066F4: BF05C051
	s_cbranch_scc1 label_0A46                                  // 0000000066F8: BF850007
	s_cmp_le_i32 s81, 0x80                                     // 0000000066FC: BF05FF51 00000080
	s_cbranch_scc1 label_0A5E                                  // 000000006704: BF850017
	s_cmp_lt_i32 s81, 0xc0                                     // 000000006708: BF04FF51 000000C0
	s_cbranch_scc1 label_0A76                                  // 000000006710: BF85002C
	s_branch label_0A8F                                        // 000000006714: BF820044

0000000000006718 <label_0A46>:
	s_mov_b32 s60, 0                                           // 000000006718: BEBC0080
	v_and_b32_e32 v28, 15, v0                                  // 00000000671C: 2638008F
	v_add_u32_e64 v28, v28, s60                                // 000000006720: D134001C 0000791C
	v_mul_i32_i24_e64 v29, s46, 16                             // 000000006728: D106001D 0001202E
	v_add_u32_e32 v28, v28, v29                                // 000000006730: 68383B1C
	v_cmp_lt_u32_e64 s[60:61], v28, s81                        // 000000006734: D0C9003C 0000A31C
	s_nop 1                                                    // 00000000673C: BF800001
	v_cndmask_b32_e64 v48, v151, v48, s[60:61]                 // 000000006740: D1000030 00F26197
	v_cndmask_b32_e64 v49, v151, v49, s[60:61]                 // 000000006748: D1000031 00F26397
	v_cndmask_b32_e64 v50, v151, v50, s[60:61]                 // 000000006750: D1000032 00F26597
	v_cndmask_b32_e64 v51, v151, v51, s[60:61]                 // 000000006758: D1000033 00F26797
	s_branch label_0A71                                        // 000000006760: BF820013

0000000000006764 <label_0A5E>:
	s_mov_b32 s60, 64                                          // 000000006764: BEBC00C0
	v_and_b32_e32 v28, 15, v0                                  // 000000006768: 2638008F
	v_add_u32_e64 v28, v28, s60                                // 00000000676C: D134001C 0000791C
	v_mul_i32_i24_e64 v29, s46, 16                             // 000000006774: D106001D 0001202E
	v_add_u32_e32 v28, v28, v29                                // 00000000677C: 68383B1C
	v_cmp_lt_u32_e64 s[60:61], v28, s81                        // 000000006780: D0C9003C 0000A31C
	s_nop 1                                                    // 000000006788: BF800001
	v_cndmask_b32_e64 v52, v151, v52, s[60:61]                 // 00000000678C: D1000034 00F26997
	v_cndmask_b32_e64 v53, v151, v53, s[60:61]                 // 000000006794: D1000035 00F26B97
	v_cndmask_b32_e64 v54, v151, v54, s[60:61]                 // 00000000679C: D1000036 00F26D97
	v_cndmask_b32_e64 v55, v151, v55, s[60:61]                 // 0000000067A4: D1000037 00F26F97
	s_branch label_0A8A                                        // 0000000067AC: BF820019

00000000000067b0 <label_0A71>:
	v_mov_b32_e32 v52, v151                                    // 0000000067B0: 7E680397
	v_mov_b32_e32 v53, v151                                    // 0000000067B4: 7E6A0397
	v_mov_b32_e32 v54, v151                                    // 0000000067B8: 7E6C0397
	v_mov_b32_e32 v55, v151                                    // 0000000067BC: 7E6E0397
	s_branch label_0A8A                                        // 0000000067C0: BF820014

00000000000067c4 <label_0A76>:
	s_mov_b32 s60, 0x80                                        // 0000000067C4: BEBC00FF 00000080
	v_and_b32_e32 v28, 15, v0                                  // 0000000067CC: 2638008F
	v_add_u32_e64 v28, v28, s60                                // 0000000067D0: D134001C 0000791C
	v_mul_i32_i24_e64 v29, s46, 16                             // 0000000067D8: D106001D 0001202E
	v_add_u32_e32 v28, v28, v29                                // 0000000067E0: 68383B1C
	v_cmp_lt_u32_e64 s[60:61], v28, s81                        // 0000000067E4: D0C9003C 0000A31C
	s_nop 1                                                    // 0000000067EC: BF800001
	v_cndmask_b32_e64 v56, v151, v56, s[60:61]                 // 0000000067F0: D1000038 00F27197
	v_cndmask_b32_e64 v57, v151, v57, s[60:61]                 // 0000000067F8: D1000039 00F27397
	v_cndmask_b32_e64 v58, v151, v58, s[60:61]                 // 000000006800: D100003A 00F27597
	v_cndmask_b32_e64 v59, v151, v59, s[60:61]                 // 000000006808: D100003B 00F27797
	s_branch label_0A8F                                        // 000000006810: BF820005

0000000000006814 <label_0A8A>:
	v_mov_b32_e32 v56, v151                                    // 000000006814: 7E700397
	v_mov_b32_e32 v57, v151                                    // 000000006818: 7E720397
	v_mov_b32_e32 v58, v151                                    // 00000000681C: 7E740397
	v_mov_b32_e32 v59, v151                                    // 000000006820: 7E760397
	s_branch label_0A8F                                        // 000000006824: BF820000

0000000000006828 <label_0A8F>:
	s_waitcnt lgkmcnt(8)                                       // 000000006828: BF8CC87F
	s_barrier                                                  // 00000000682C: BF8A0000
	v_mfma_f32_16x16x16_bf16 v[72:75], v[92:93], a[96:97], 0   // 000000006830: D3E10048 1202C15C
	ds_read_b128 a[144:147], v12 offset:4352                   // 000000006838: DBFE1100 9000000C
	ds_read_b128 a[148:151], v12 offset:4864                   // 000000006840: DBFE1300 9400000C
	v_mfma_f32_16x16x16_bf16 v[72:75], v[94:95], a[98:99], v[72:75]// 000000006848: D3E10048 1522C55E
	v_fma_f32 v48, v48, s57, -v124                             // 000000006850: D1CB0030 85F07330
	v_fma_f32 v49, v49, s57, -v125                             // 000000006858: D1CB0031 85F47331
	v_fma_f32 v50, v50, s57, -v126                             // 000000006860: D1CB0032 85F87332
	v_mfma_f32_16x16x16_bf16 v[72:75], v[96:97], a[100:101], v[72:75]// 000000006868: D3E10048 1522C960
	v_fma_f32 v51, v51, s57, -v127                             // 000000006870: D1CB0033 85FC7333
	v_fma_f32 v52, v52, s57, -v124                             // 000000006878: D1CB0034 85F07334
	v_fma_f32 v53, v53, s57, -v125                             // 000000006880: D1CB0035 85F47335
	v_mfma_f32_16x16x16_bf16 v[72:75], v[98:99], a[102:103], v[72:75]// 000000006888: D3E10048 1522CD62
	v_fma_f32 v54, v54, s57, -v126                             // 000000006890: D1CB0036 85F87336
	v_fma_f32 v55, v55, s57, -v127                             // 000000006898: D1CB0037 85FC7337
	v_fma_f32 v56, v56, s57, -v124                             // 0000000068A0: D1CB0038 85F07338
	v_mfma_f32_16x16x16_bf16 v[72:75], v[100:101], a[104:105], v[72:75]// 0000000068A8: D3E10048 1522D164
	ds_read_b128 a[152:155], v12 offset:6528                   // 0000000068B0: DBFE1980 9800000C
	ds_read_b128 a[156:159], v12 offset:7040                   // 0000000068B8: DBFE1B80 9C00000C
	v_mfma_f32_16x16x16_bf16 v[72:75], v[102:103], a[106:107], v[72:75]// 0000000068C0: D3E10048 1522D566
	v_fma_f32 v57, v57, s57, -v125                             // 0000000068C8: D1CB0039 85F47339
	v_fma_f32 v58, v58, s57, -v126                             // 0000000068D0: D1CB003A 85F8733A
	v_fma_f32 v59, v59, s57, -v127                             // 0000000068D8: D1CB003B 85FC733B
	v_mfma_f32_16x16x16_bf16 v[72:75], v[104:105], a[108:109], v[72:75]// 0000000068E0: D3E10048 1522D968
	v_exp_f32_e32 v48, v48                                     // 0000000068E8: 7E604130
	v_mfma_f32_16x16x16_bf16 v[72:75], v[106:107], a[110:111], v[72:75]// 0000000068EC: D3E10048 1522DD6A
	v_exp_f32_e32 v49, v49                                     // 0000000068F4: 7E624131
	v_mfma_f32_16x16x16_bf16 v[76:79], v[92:93], a[112:113], 0 // 0000000068F8: D3E1004C 1202E15C
	ds_read_b64 v[136:137], v19 offset:24320                   // 000000006900: D8EC5F00 88000013
	ds_read_b64 v[138:139], v19 offset:26368                   // 000000006908: D8EC6700 8A000013
	v_mfma_f32_16x16x16_bf16 v[76:79], v[94:95], a[114:115], v[76:79]// 000000006910: D3E1004C 1532E55E
	v_exp_f32_e32 v50, v50                                     // 000000006918: 7E644132
	v_mfma_f32_16x16x16_bf16 v[76:79], v[96:97], a[116:117], v[76:79]// 00000000691C: D3E1004C 1532E960
	ds_read_b64 v[140:141], v19 offset:28416                   // 000000006924: D8EC6F00 8C000013
	ds_read_b64 v[142:143], v19 offset:30464                   // 00000000692C: D8EC7700 8E000013
	v_mfma_f32_16x16x16_bf16 v[76:79], v[98:99], a[118:119], v[76:79]// 000000006934: D3E1004C 1532ED62
	v_exp_f32_e32 v51, v51                                     // 00000000693C: 7E664133
	v_mfma_f32_16x16x16_bf16 v[76:79], v[100:101], a[120:121], v[76:79]// 000000006940: D3E1004C 1532F164
	v_exp_f32_e32 v52, v52                                     // 000000006948: 7E684134
	v_mfma_f32_16x16x16_bf16 v[76:79], v[102:103], a[122:123], v[76:79]// 00000000694C: D3E1004C 1532F566
	v_exp_f32_e32 v53, v53                                     // 000000006954: 7E6A4135
	v_mfma_f32_16x16x16_bf16 v[76:79], v[104:105], a[124:125], v[76:79]// 000000006958: D3E1004C 1532F968
	v_exp_f32_e32 v54, v54                                     // 000000006960: 7E6C4136
	v_mfma_f32_16x16x16_bf16 v[76:79], v[106:107], a[126:127], v[76:79]// 000000006964: D3E1004C 1532FD6A
	v_exp_f32_e32 v55, v55                                     // 00000000696C: 7E6E4137
	v_mfma_f32_16x16x16_bf16 v[80:83], v[92:93], a[128:129], 0 // 000000006970: D3E10050 1203015C
	v_exp_f32_e32 v56, v56                                     // 000000006978: 7E704138
	v_mfma_f32_16x16x16_bf16 v[80:83], v[94:95], a[130:131], v[80:83]// 00000000697C: D3E10050 1543055E
	v_exp_f32_e32 v57, v57                                     // 000000006984: 7E724139
	v_mfma_f32_16x16x16_bf16 v[80:83], v[96:97], a[132:133], v[80:83]// 000000006988: D3E10050 15430960
	v_exp_f32_e32 v58, v58                                     // 000000006990: 7E74413A
	v_mfma_f32_16x16x16_bf16 v[80:83], v[98:99], a[134:135], v[80:83]// 000000006994: D3E10050 15430D62
	v_exp_f32_e32 v59, v59                                     // 00000000699C: 7E76413B
	v_mfma_f32_16x16x16_bf16 v[80:83], v[100:101], a[136:137], v[80:83]// 0000000069A0: D3E10050 15431164
	v_perm_b32 v144, v49, v48, s64                             // 0000000069A8: D1ED0090 01026131
	v_perm_b32 v145, v51, v50, s64                             // 0000000069B0: D1ED0091 01026533
	v_perm_b32 v146, v53, v52, s64                             // 0000000069B8: D1ED0092 01026935
	v_mfma_f32_16x16x16_bf16 v[80:83], v[102:103], a[138:139], v[80:83]// 0000000069C0: D3E10050 15431566
	v_perm_b32 v147, v55, v54, s64                             // 0000000069C8: D1ED0093 01026D37
	v_perm_b32 v148, v57, v56, s64                             // 0000000069D0: D1ED0094 01027139
	v_perm_b32 v149, v59, v58, s64                             // 0000000069D8: D1ED0095 0102753B
	v_mfma_f32_16x16x16_bf16 v[80:83], v[104:105], a[140:141], v[80:83]// 0000000069E0: D3E10050 15431968
	v_add_u32_e32 v7, s66, v7                                  // 0000000069E8: 680E0E42
	v_add_u32_e32 v8, s66, v8                                  // 0000000069EC: 68101042
	v_mfma_f32_16x16x16_bf16 v[80:83], v[106:107], a[142:143], v[80:83]// 0000000069F0: D3E10050 15431D6A
	s_waitcnt lgkmcnt(0)                                       // 0000000069F8: BF8CC07F
	s_barrier                                                  // 0000000069FC: BF8A0000
	v_mfma_f32_16x16x16_bf16 v[152:155], v[108:109], v[144:145], v[152:155]// 000000006A00: D3E10098 0663216C
	v_subrev_f32_dpp v72, v150, v72 quad_perm:[0,0,0,0] row_mask:0xf bank_mask:0xf// 000000006A08: 069090FA FF000096
	v_subrev_f32_dpp v73, v150, v73 quad_perm:[1,1,1,1] row_mask:0xf bank_mask:0xf// 000000006A10: 069292FA FF005596
	v_subrev_f32_dpp v74, v150, v74 quad_perm:[2,2,2,2] row_mask:0xf bank_mask:0xf// 000000006A18: 069494FA FF00AA96
	v_mfma_f32_16x16x16_bf16 v[156:159], v[110:111], v[144:145], v[156:159]// 000000006A20: D3E1009C 0673216E
	v_subrev_f32_dpp v75, v150, v75 quad_perm:[3,3,3,3] row_mask:0xf bank_mask:0xf// 000000006A28: 069696FA FF00FF96
	v_subrev_f32_dpp v76, v150, v76 quad_perm:[0,0,0,0] row_mask:0xf bank_mask:0xf// 000000006A30: 069898FA FF000096
	v_subrev_f32_dpp v77, v150, v77 quad_perm:[1,1,1,1] row_mask:0xf bank_mask:0xf// 000000006A38: 069A9AFA FF005596
	v_mfma_f32_16x16x16_bf16 v[160:163], v[112:113], v[144:145], v[160:163]// 000000006A40: D3E100A0 06832170
	v_mul_f32_e32 v72, v48, v72                                // 000000006A48: 0A909130
	v_mul_f32_e32 v73, v49, v73                                // 000000006A4C: 0A929331
	v_mul_f32_e32 v74, v50, v74                                // 000000006A50: 0A949532
	v_mfma_f32_16x16x16_bf16 v[164:167], v[114:115], v[144:145], v[164:167]// 000000006A54: D3E100A4 06932172
	v_mul_f32_e32 v75, v51, v75                                // 000000006A5C: 0A969733
	v_mul_f32_e32 v76, v52, v76                                // 000000006A60: 0A989934
	v_mul_f32_e32 v77, v53, v77                                // 000000006A64: 0A9A9B35
	v_mfma_f32_16x16x16_bf16 v[168:171], v[116:117], v[144:145], v[168:171]// 000000006A68: D3E100A8 06A32174
	v_perm_b32 v72, v73, v72, s64                              // 000000006A70: D1ED0048 01029149
	v_perm_b32 v73, v75, v74, s64                              // 000000006A78: D1ED0049 0102954B
	v_perm_b32 v74, v77, v76, s64                              // 000000006A80: D1ED004A 0102994D
	v_mfma_f32_16x16x16_bf16 v[172:175], v[118:119], v[144:145], v[172:175]// 000000006A88: D3E100AC 06B32176
	v_mov_b32_dpp v16, v72 quad_perm:[1,0,3,2] row_mask:0xf bank_mask:0xf// 000000006A90: 7E2002FA FF00B148
	v_perm_b32 v48, v16, v72, v15                              // 000000006A98: D1ED0030 043E9110
	v_mov_b32_dpp v16, v73 quad_perm:[1,0,3,2] row_mask:0xf bank_mask:0xf// 000000006AA0: 7E2002FA FF00B149
	v_mfma_f32_16x16x16_bf16 v[176:179], v[120:121], v[144:145], v[176:179]// 000000006AA8: D3E100B0 06C32178
	v_perm_b32 v49, v16, v73, v15                              // 000000006AB0: D1ED0031 043E9310
	v_mov_b32_dpp v16, v74 quad_perm:[1,0,3,2] row_mask:0xf bank_mask:0xf// 000000006AB8: 7E2002FA FF00B14A
	v_perm_b32 v50, v16, v74, v15                              // 000000006AC0: D1ED0032 043E9510
	v_mfma_f32_16x16x16_bf16 v[180:183], v[122:123], v[144:145], v[180:183]// 000000006AC8: D3E100B4 06D3217A
	ds_write_b32 v18, v48 offset:17408                         // 000000006AD0: D81A4400 00003012
	v_mfma_f32_16x16x16_bf16 v[184:187], v[108:109], v[146:147], v[184:187]// 000000006AD8: D3E100B8 06E3256C
	v_subrev_f32_dpp v78, v150, v78 quad_perm:[2,2,2,2] row_mask:0xf bank_mask:0xf// 000000006AE0: 069C9CFA FF00AA96
	v_subrev_f32_dpp v79, v150, v79 quad_perm:[3,3,3,3] row_mask:0xf bank_mask:0xf// 000000006AE8: 069E9EFA FF00FF96
	v_subrev_f32_dpp v80, v150, v80 quad_perm:[0,0,0,0] row_mask:0xf bank_mask:0xf// 000000006AF0: 06A0A0FA FF000096
	v_mfma_f32_16x16x16_bf16 v[188:191], v[110:111], v[146:147], v[188:191]// 000000006AF8: D3E100BC 06F3256E
	ds_write_b32 v18, v49 offset:17952                         // 000000006B00: D81A4620 00003112
	v_mfma_f32_16x16x16_bf16 v[192:195], v[112:113], v[146:147], v[192:195]// 000000006B08: D3E100C0 07032570
	v_subrev_f32_dpp v81, v150, v81 quad_perm:[1,1,1,1] row_mask:0xf bank_mask:0xf// 000000006B10: 06A2A2FA FF005596
	v_subrev_f32_dpp v82, v150, v82 quad_perm:[2,2,2,2] row_mask:0xf bank_mask:0xf// 000000006B18: 06A4A4FA FF00AA96
	v_subrev_f32_dpp v83, v150, v83 quad_perm:[3,3,3,3] row_mask:0xf bank_mask:0xf// 000000006B20: 06A6A6FA FF00FF96
	v_mfma_f32_16x16x16_bf16 v[196:199], v[114:115], v[146:147], v[196:199]// 000000006B28: D3E100C4 07132572
	ds_write_b32 v18, v50 offset:19712                         // 000000006B30: D81A4D00 00003212
	v_mfma_f32_16x16x16_bf16 v[200:203], v[116:117], v[146:147], v[200:203]// 000000006B38: D3E100C8 07232574
	v_mul_f32_e32 v78, v54, v78                                // 000000006B40: 0A9C9D36
	v_mul_f32_e32 v79, v55, v79                                // 000000006B44: 0A9E9F37
	v_mul_f32_e32 v80, v56, v80                                // 000000006B48: 0AA0A138
	v_mfma_f32_16x16x16_bf16 v[204:207], v[118:119], v[146:147], v[204:207]// 000000006B4C: D3E100CC 07332576
	v_mul_f32_e32 v81, v57, v81                                // 000000006B54: 0AA2A339
	v_mul_f32_e32 v82, v58, v82                                // 000000006B58: 0AA4A53A
	v_mul_f32_e32 v83, v59, v83                                // 000000006B5C: 0AA6A73B
	v_mfma_f32_16x16x16_bf16 v[208:211], v[120:121], v[146:147], v[208:211]// 000000006B60: D3E100D0 07432578
	v_perm_b32 v75, v79, v78, s64                              // 000000006B68: D1ED004B 01029D4F
	v_perm_b32 v76, v81, v80, s64                              // 000000006B70: D1ED004C 0102A151
	v_perm_b32 v77, v83, v82, s64                              // 000000006B78: D1ED004D 0102A553
	v_mfma_f32_16x16x16_bf16 v[212:215], v[122:123], v[146:147], v[212:215]// 000000006B80: D3E100D4 0753257A
	v_mov_b32_dpp v16, v75 quad_perm:[1,0,3,2] row_mask:0xf bank_mask:0xf// 000000006B88: 7E2002FA FF00B14B
	v_perm_b32 v51, v16, v75, v15                              // 000000006B90: D1ED0033 043E9710
	v_mov_b32_dpp v16, v76 quad_perm:[1,0,3,2] row_mask:0xf bank_mask:0xf// 000000006B98: 7E2002FA FF00B14C
	v_mfma_f32_16x16x16_bf16 v[216:219], v[108:109], v[148:149], v[216:219]// 000000006BA0: D3E100D8 0763296C
	v_perm_b32 v52, v16, v76, v15                              // 000000006BA8: D1ED0034 043E9910
	v_mov_b32_dpp v16, v77 quad_perm:[1,0,3,2] row_mask:0xf bank_mask:0xf// 000000006BB0: 7E2002FA FF00B14D
	v_perm_b32 v53, v16, v77, v15                              // 000000006BB8: D1ED0035 043E9B10
	v_mfma_f32_16x16x16_bf16 v[220:223], v[110:111], v[148:149], v[220:223]// 000000006BC0: D3E100DC 0773296E
	ds_write_b32 v18, v51 offset:20256                         // 000000006BC8: D81A4F20 00003312
	v_mfma_f32_16x16x16_bf16 v[224:227], v[112:113], v[148:149], v[224:227]// 000000006BD0: D3E100E0 07832970
	v_mfma_f32_16x16x16_bf16 v[228:231], v[114:115], v[148:149], v[228:231]// 000000006BD8: D3E100E4 07932972
	ds_write_b32 v18, v52 offset:22016                         // 000000006BE0: D81A5600 00003412
	ds_write_b32 v18, v53 offset:22560                         // 000000006BE8: D81A5820 00003512
	v_mfma_f32_16x16x16_bf16 v[232:235], v[116:117], v[148:149], v[232:235]// 000000006BF0: D3E100E8 07A32974
	v_mfma_f32_16x16x16_bf16 v[236:239], v[118:119], v[148:149], v[236:239]// 000000006BF8: D3E100EC 07B32976
	ds_write_b32 v13, v84 offset:4352                          // 000000006C00: D81A1100 0000540D
	ds_write_b32 v13, v85 offset:5408                          // 000000006C08: D81A1520 0000550D
	v_mfma_f32_16x16x16_bf16 v[240:243], v[120:121], v[148:149], v[240:243]// 000000006C10: D3E100F0 07C32978
	s_nop 0                                                    // 000000006C18: BF800000
	s_nop 0                                                    // 000000006C1C: BF800000
	s_nop 0                                                    // 000000006C20: BF800000
	v_mfma_f32_16x16x16_bf16 v[244:247], v[122:123], v[148:149], v[244:247]// 000000006C24: D3E100F4 07D3297A
	ds_write_b32 v13, v86 offset:4480                          // 000000006C2C: D81A1180 0000560D
	ds_write_b32 v13, v87 offset:5536                          // 000000006C34: D81A15A0 0000570D
	s_barrier                                                  // 000000006C3C: BF8A0000
	v_mfma_f32_16x16x16_bf16 a[160:163], a[144:145], v[72:73], a[160:163]// 000000006C40: D3E180A0 0E829190
	buffer_atomic_add_f32 v136, v7, s[32:35], 0 offen          // 000000006C48: E1341000 80088807
	v_mfma_f32_16x16x16_bf16 a[164:167], a[146:147], v[72:73], a[164:167]// 000000006C50: D3E180A4 0E929192
	ds_read_b32 v124, v21 offset:51200                         // 000000006C58: D86CC800 7C000015
	ds_read_b32 v150, v21 offset:51456                         // 000000006C60: D86CC900 96000015
	v_mfma_f32_16x16x16_bf16 a[168:171], a[148:149], v[72:73], a[168:171]// 000000006C68: D3E180A8 0EA29194
	s_waitcnt lgkmcnt(6)                                       // 000000006C70: BF8CC67F
	s_barrier                                                  // 000000006C74: BF8A0000
	v_mfma_f32_16x16x16_bf16 a[172:175], a[150:151], v[72:73], a[172:175]// 000000006C78: D3E180AC 0EB29196
	ds_read_b128 v[48:51], v17 offset:17408                    // 000000006C80: D9FE4400 30000011
	v_mfma_f32_16x16x16_bf16 a[176:179], a[152:153], v[72:73], a[176:179]// 000000006C88: D3E180B0 0EC29198
	v_mfma_f32_16x16x16_bf16 a[180:183], a[154:155], v[72:73], a[180:183]// 000000006C90: D3E180B4 0ED2919A
	ds_read_b128 v[52:55], v17 offset:18560                    // 000000006C98: D9FE4880 34000011
	v_mfma_f32_16x16x16_bf16 a[184:187], a[156:157], v[72:73], a[184:187]// 000000006CA0: D3E180B8 0EE2919C
	buffer_atomic_add_f32 v137, v8, s[32:35], 0 offen          // 000000006CA8: E1341000 80088908
	v_mfma_f32_16x16x16_bf16 a[188:191], a[158:159], v[72:73], a[188:191]// 000000006CB0: D3E180BC 0EF2919E
	ds_read_b128 v[56:59], v17 offset:19712                    // 000000006CB8: D9FE4D00 38000011
	v_mfma_f32_16x16x16_bf16 a[192:195], a[144:145], v[74:75], a[192:195]// 000000006CC0: D3E180C0 0F029590
	v_mfma_f32_16x16x16_bf16 a[196:199], a[146:147], v[74:75], a[196:199]// 000000006CC8: D3E180C4 0F129592
	ds_read_b128 v[60:63], v17 offset:20864                    // 000000006CD0: D9FE5180 3C000011
	v_mfma_f32_16x16x16_bf16 a[200:203], a[148:149], v[74:75], a[200:203]// 000000006CD8: D3E180C8 0F229594
	v_mfma_f32_16x16x16_bf16 a[204:207], a[150:151], v[74:75], a[204:207]// 000000006CE0: D3E180CC 0F329596
	ds_read_b128 v[64:67], v17 offset:22016                    // 000000006CE8: D9FE5600 40000011
	v_mfma_f32_16x16x16_bf16 a[208:211], a[152:153], v[74:75], a[208:211]// 000000006CF0: D3E180D0 0F429598
	buffer_atomic_add_f32 v138, v7, s[32:35], 0 offen offset:128// 000000006CF8: E1341080 80088A07
	v_mfma_f32_16x16x16_bf16 a[212:215], a[154:155], v[74:75], a[212:215]// 000000006D00: D3E180D4 0F52959A
	ds_read_b128 v[68:71], v17 offset:23168                    // 000000006D08: D9FE5A80 44000011
	v_mfma_f32_16x16x16_bf16 a[216:219], a[156:157], v[74:75], a[216:219]// 000000006D10: D3E180D8 0F62959C
	v_mfma_f32_16x16x16_bf16 a[220:223], a[158:159], v[74:75], a[220:223]// 000000006D18: D3E180DC 0F72959E
	ds_write_b32 v13, v88 offset:13056                         // 000000006D20: D81A3300 0000580D
	v_mfma_f32_16x16x16_bf16 a[224:227], a[144:145], v[76:77], a[224:227]// 000000006D28: D3E180E0 0F829990
	v_mfma_f32_16x16x16_bf16 a[228:231], a[146:147], v[76:77], a[228:231]// 000000006D30: D3E180E4 0F929992
	ds_write_b32 v13, v89 offset:14112                         // 000000006D38: D81A3720 0000590D
	v_mfma_f32_16x16x16_bf16 a[232:235], a[148:149], v[76:77], a[232:235]// 000000006D40: D3E180E8 0FA29994
	buffer_atomic_add_f32 v139, v8, s[32:35], 0 offen offset:128// 000000006D48: E1341080 80088B08
	v_mfma_f32_16x16x16_bf16 a[236:239], a[150:151], v[76:77], a[236:239]// 000000006D50: D3E180EC 0FB29996
	ds_write_b32 v13, v90 offset:13184                         // 000000006D58: D81A3380 00005A0D
	v_mfma_f32_16x16x16_bf16 a[240:243], a[152:153], v[76:77], a[240:243]// 000000006D60: D3E180F0 0FC29998
	v_mfma_f32_16x16x16_bf16 a[244:247], a[154:155], v[76:77], a[244:247]// 000000006D68: D3E180F4 0FD2999A
	ds_write_b32 v13, v91 offset:14240                         // 000000006D70: D81A37A0 00005B0D
	v_mfma_f32_16x16x16_bf16 a[248:251], a[156:157], v[76:77], a[248:251]// 000000006D78: D3E180F8 0FE2999C
	v_mfma_f32_16x16x16_bf16 a[252:255], a[158:159], v[76:77], a[252:255]// 000000006D80: D3E180FC 0FF2999E
	s_waitcnt vmcnt(8) lgkmcnt(4)                              // 000000006D88: BF8C0478
	s_barrier                                                  // 000000006D8C: BF8A0000
	v_mfma_f32_16x16x16_bf16 v[128:131], v[48:49], a[48:49], 0 // 000000006D90: D3E10080 12026130
	v_mul_f32_e32 v124, s48, v124                              // 000000006D98: 0AF8F830
	s_nop 0                                                    // 000000006D9C: BF800000
	v_mfma_f32_16x16x16_bf16 v[128:131], v[50:51], a[52:53], v[128:131]// 000000006DA0: D3E10080 16026932
	ds_read_b128 a[144:147], v10                               // 000000006DA8: DBFE0000 9000000A
	v_mov_b32_e32 v36, 0                                       // 000000006DB0: 7E480280
	s_mov_b64 exec, s[78:79]                                   // 000000006DB4: BEFE014E
	buffer_load_dword v36, v1, s[8:11], 0 idxen                // 000000006DB8: E0502000 80022401
	s_mov_b64 exec, s[84:85]                                   // 000000006DC0: BEFE0154
	v_mfma_f32_16x16x16_bf16 v[128:131], v[52:53], a[56:57], v[128:131]// 000000006DC4: D3E10080 16027134
	v_mfma_f32_16x16x16_bf16 v[128:131], v[54:55], a[60:61], v[128:131]// 000000006DCC: D3E10080 16027936
	ds_read_b128 a[148:151], v10 offset:512                    // 000000006DD4: DBFE0200 9400000A
	v_mov_b32_e32 v37, 0                                       // 000000006DDC: 7E4A0280
	s_mov_b64 exec, s[78:79]                                   // 000000006DE0: BEFE014E
	buffer_load_dword v37, v2, s[8:11], 0 idxen                // 000000006DE4: E0502000 80022502
	s_mov_b64 exec, s[84:85]                                   // 000000006DEC: BEFE0154
	v_mfma_f32_16x16x16_bf16 v[128:131], v[56:57], a[64:65], v[128:131]// 000000006DF0: D3E10080 16028138
	v_perm_b32 v84, v33, v32, s63                              // 000000006DF8: D1ED0054 00FE4121
	v_perm_b32 v85, v33, v32, s64                              // 000000006E00: D1ED0055 01024121
	v_mfma_f32_16x16x16_bf16 v[128:131], v[58:59], a[68:69], v[128:131]// 000000006E08: D3E10080 1602893A
	ds_read_b128 a[152:155], v10 offset:2176                   // 000000006E10: DBFE0880 9800000A
	v_mov_b32_e32 v38, 0                                       // 000000006E18: 7E4C0280
	s_mov_b64 exec, s[78:79]                                   // 000000006E1C: BEFE014E
	buffer_load_dword v38, v3, s[8:11], 0 idxen                // 000000006E20: E0502000 80022603
	s_mov_b64 exec, s[84:85]                                   // 000000006E28: BEFE0154
	v_mfma_f32_16x16x16_bf16 v[128:131], v[60:61], a[72:73], v[128:131]// 000000006E2C: D3E10080 1602913C
	v_perm_b32 v86, v35, v34, s63                              // 000000006E34: D1ED0056 00FE4523
	v_perm_b32 v87, v35, v34, s64                              // 000000006E3C: D1ED0057 01024523
	v_mfma_f32_16x16x16_bf16 v[128:131], v[62:63], a[76:77], v[128:131]// 000000006E44: D3E10080 1602993E
	ds_read_b128 a[156:159], v10 offset:2688                   // 000000006E4C: DBFE0A80 9C00000A
	v_mov_b32_e32 v39, 0                                       // 000000006E54: 7E4E0280
	s_mov_b64 exec, s[78:79]                                   // 000000006E58: BEFE014E
	buffer_load_dword v39, v4, s[8:11], 0 idxen                // 000000006E5C: E0502000 80022704
	s_mov_b64 exec, s[84:85]                                   // 000000006E64: BEFE0154
	v_mfma_f32_16x16x16_bf16 v[128:131], v[64:65], a[80:81], v[128:131]// 000000006E68: D3E10080 1602A140
	v_perm_b32 v88, v41, v40, s63                              // 000000006E70: D1ED0058 00FE5129
	v_perm_b32 v89, v41, v40, s64                              // 000000006E78: D1ED0059 01025129
	v_mfma_f32_16x16x16_bf16 v[128:131], v[66:67], a[84:85], v[128:131]// 000000006E80: D3E10080 1602A942
	ds_read_b128 v[92:95], v10 offset:8704                     // 000000006E88: D9FE2200 5C00000A
	v_mov_b32_e32 v44, 0                                       // 000000006E90: 7E580280
	s_mov_b64 exec, s[78:79]                                   // 000000006E94: BEFE014E
	buffer_load_dword v44, v252, s[20:23], 0 idxen             // 000000006E98: E0502000 80052CFC
	s_mov_b64 exec, s[84:85]                                   // 000000006EA0: BEFE0154
	v_mfma_f32_16x16x16_bf16 v[128:131], v[68:69], a[88:89], v[128:131]// 000000006EA4: D3E10080 1602B144
	v_perm_b32 v90, v43, v42, s63                              // 000000006EAC: D1ED005A 00FE552B
	v_perm_b32 v91, v43, v42, s64                              // 000000006EB4: D1ED005B 0102552B
	v_mfma_f32_16x16x16_bf16 v[128:131], v[70:71], a[92:93], v[128:131]// 000000006EBC: D3E10080 1602B946
	ds_read_b128 v[96:99], v10 offset:9216                     // 000000006EC4: D9FE2400 6000000A
	v_mov_b32_e32 v45, 0                                       // 000000006ECC: 7E5A0280
	s_mov_b64 exec, s[78:79]                                   // 000000006ED0: BEFE014E
	buffer_load_dword v45, v253, s[20:23], 0 idxen             // 000000006ED4: E0502000 80052DFD
	s_mov_b64 exec, s[84:85]                                   // 000000006EDC: BEFE0154
	v_mfma_f32_16x16x16_bf16 v[132:135], v[48:49], a[50:51], 0 // 000000006EE0: D3E10084 12026530
	v_mov_b32_dpp v127, v124 quad_perm:[3,3,3,3] row_mask:0xf bank_mask:0xf// 000000006EE8: 7EFE02FA FF00FF7C
	v_mov_b32_dpp v126, v124 quad_perm:[2,2,2,2] row_mask:0xf bank_mask:0xf// 000000006EF0: 7EFC02FA FF00AA7C
	v_mfma_f32_16x16x16_bf16 v[132:135], v[50:51], a[54:55], v[132:135]// 000000006EF8: D3E10084 16126D32
	ds_read_b128 v[100:103], v10 offset:10880                  // 000000006F00: D9FE2A80 6400000A
	v_mov_b32_e32 v46, 0                                       // 000000006F08: 7E5C0280
	s_mov_b64 exec, s[78:79]                                   // 000000006F0C: BEFE014E
	buffer_load_dword v46, v254, s[20:23], 0 idxen             // 000000006F10: E0502000 80052EFE
	s_mov_b64 exec, s[84:85]                                   // 000000006F18: BEFE0154
	v_mfma_f32_16x16x16_bf16 v[132:135], v[52:53], a[58:59], v[132:135]// 000000006F1C: D3E10084 16127534
	v_mov_b32_dpp v125, v124 quad_perm:[1,1,1,1] row_mask:0xf bank_mask:0xf// 000000006F24: 7EFA02FA FF00557C
	v_mov_b32_dpp v124, v124 quad_perm:[0,0,0,0] row_mask:0xf bank_mask:0xf// 000000006F2C: 7EF802FA FF00007C
	s_add_u32 s60, 64, s59                                     // 000000006F34: 803C3BC0
	v_mfma_f32_16x16x16_bf16 v[132:135], v[54:55], a[62:63], v[132:135]// 000000006F38: D3E10084 16127D36
	ds_read_b128 v[104:107], v10 offset:11392                  // 000000006F40: D9FE2C80 6800000A
	v_mov_b32_e32 v47, 0                                       // 000000006F48: 7E5E0280
	s_mov_b64 exec, s[78:79]                                   // 000000006F4C: BEFE014E
	buffer_load_dword v47, v255, s[20:23], 0 idxen             // 000000006F50: E0502000 80052FFF
	s_mov_b64 exec, s[84:85]                                   // 000000006F58: BEFE0154
	v_mfma_f32_16x16x16_bf16 v[132:135], v[56:57], a[66:67], v[132:135]// 000000006F5C: D3E10084 16128538
	s_cmp_lt_u32 s60, s58                                      // 000000006F64: BF0A3A3C
	s_cselect_b32 s68, s68, 0                                  // 000000006F68: 85448044
	s_cselect_b32 s101, s101, 0                                // 000000006F6C: 85658065
	s_cselect_b32 s69, s69, 0                                  // 000000006F70: 85458045
	v_mfma_f32_16x16x16_bf16 v[132:135], v[58:59], a[70:71], v[132:135]// 000000006F74: D3E10084 16128D3A
	buffer_load_dword v9, s[24:27], 0 idxen lds                // 000000006F7C: E0512000 80060009
	v_mfma_f32_16x16x16_bf16 v[132:135], v[60:61], a[74:75], v[132:135]// 000000006F84: D3E10084 1612953C
	v_add_u32_e32 v1, s68, v1                                  // 000000006F8C: 68020244
	v_add_u32_e32 v2, s68, v2                                  // 000000006F90: 68040444
	v_add_u32_e32 v3, s68, v3                                  // 000000006F94: 68060644
	v_add_u32_e32 v4, s68, v4                                  // 000000006F98: 68080844
	v_mfma_f32_16x16x16_bf16 v[132:135], v[62:63], a[78:79], v[132:135]// 000000006F9C: D3E10084 16129D3E
	v_add_u32_e32 v252, s101, v252                             // 000000006FA4: 69F9F865
	v_add_u32_e32 v253, s101, v253                             // 000000006FA8: 69FBFA65
	v_add_u32_e32 v254, s101, v254                             // 000000006FAC: 69FDFC65
	v_add_u32_e32 v255, s101, v255                             // 000000006FB0: 69FFFE65
	v_mfma_f32_16x16x16_bf16 v[132:135], v[64:65], a[82:83], v[132:135]// 000000006FB4: D3E10084 1612A540
	s_mov_b32 m0, s76                                          // 000000006FBC: BEFC004C
	v_add_u32_e32 v9, s69, v9                                  // 000000006FC0: 68121245
	v_mfma_f32_16x16x16_bf16 v[132:135], v[66:67], a[86:87], v[132:135]// 000000006FC4: D3E10084 1612AD42
	s_cmp_ge_u32 s59, 16                                       // 000000006FCC: BF09903B
	s_cselect_b32 s66, s67, s66                                // 000000006FD0: 85424243
	v_mfma_f32_16x16x16_bf16 v[132:135], v[68:69], a[90:91], v[132:135]// 000000006FD4: D3E10084 1612B544
	s_addk_i32 s59, 0x10                                       // 000000006FDC: B73B0010
	s_nop 0                                                    // 000000006FE0: BF800000
	s_cmp_lt_i32 s59, s58                                      // 000000006FE4: BF043A3B
	v_mfma_f32_16x16x16_bf16 v[132:135], v[70:71], a[94:95], v[132:135]// 000000006FE8: D3E10084 1612BD46
	s_cbranch_scc0 label_0F2D                                  // 000000006FF0: BF8402A6
	s_waitcnt lgkmcnt(0)                                       // 000000006FF4: BF8CC07F
	s_barrier                                                  // 000000006FF8: BF8A0000
	v_mfma_f32_16x16x16_bf16 v[48:51], a[144:145], a[0:1], 0   // 000000006FFC: D3E10030 1A020190
	ds_write_b32 v11, v40 offset:8704                          // 000000007004: D81A2200 0000280B
	ds_write_b32 v11, v41 offset:9760                          // 00000000700C: D81A2620 0000290B
	v_mfma_f32_16x16x16_bf16 v[48:51], a[146:147], a[2:3], v[48:51]// 000000007014: D3E10030 1CC20592
	v_mul_f32_e32 v128, s47, v128                              // 00000000701C: 0B01002F
	v_mul_f32_e32 v129, s47, v129                              // 000000007020: 0B03022F
	v_mfma_f32_16x16x16_bf16 v[48:51], a[148:149], a[4:5], v[48:51]// 000000007024: D3E10030 1CC20994
	ds_write_b32 v11, v42 offset:8832                          // 00000000702C: D81A2280 00002A0B
	ds_write_b32 v11, v43 offset:9888                          // 000000007034: D81A26A0 00002B0B
	v_mfma_f32_16x16x16_bf16 v[48:51], a[150:151], a[6:7], v[48:51]// 00000000703C: D3E10030 1CC20D96
	v_mul_f32_e32 v130, s47, v130                              // 000000007044: 0B05042F
	v_mul_f32_e32 v131, s47, v131                              // 000000007048: 0B07062F
	v_mfma_f32_16x16x16_bf16 v[48:51], a[152:153], a[8:9], v[48:51]// 00000000704C: D3E10030 1CC21198
	ds_write_b64 v20, v[128:129] offset:24320                  // 000000007054: D89A5F00 00008014
	v_mfma_f32_16x16x16_bf16 v[48:51], a[154:155], a[10:11], v[48:51]// 00000000705C: D3E10030 1CC2159A
	v_mul_f32_e32 v132, s47, v132                              // 000000007064: 0B09082F
	v_mul_f32_e32 v133, s47, v133                              // 000000007068: 0B0B0A2F
	v_mfma_f32_16x16x16_bf16 v[48:51], a[156:157], a[12:13], v[48:51]// 00000000706C: D3E10030 1CC2199C
	ds_write_b64 v20, v[130:131] offset:24832                  // 000000007074: D89A6100 00008214
	v_mfma_f32_16x16x16_bf16 v[48:51], a[158:159], a[14:15], v[48:51]// 00000000707C: D3E10030 1CC21D9E
	v_mul_f32_e32 v134, s47, v134                              // 000000007084: 0B0D0C2F
	v_mul_f32_e32 v135, s47, v135                              // 000000007088: 0B0F0E2F
	v_mfma_f32_16x16x16_bf16 v[52:55], a[144:145], a[16:17], 0 // 00000000708C: D3E10034 1A022190
	ds_write_b64 v20, v[132:133] offset:25344                  // 000000007094: D89A6300 00008414
	v_mfma_f32_16x16x16_bf16 v[52:55], a[146:147], a[18:19], v[52:55]// 00000000709C: D3E10034 1CD22592
	buffer_atomic_add_f32 v140, v7, s[32:35], 0 offen offset:256// 0000000070A4: E1341100 80088C07
	v_mfma_f32_16x16x16_bf16 v[52:55], a[148:149], a[20:21], v[52:55]// 0000000070AC: D3E10034 1CD22994
	ds_write_b64 v20, v[134:135] offset:25856                  // 0000000070B4: D89A6500 00008614
	v_mfma_f32_16x16x16_bf16 v[52:55], a[150:151], a[22:23], v[52:55]// 0000000070BC: D3E10034 1CD22D96
	v_mfma_f32_16x16x16_bf16 v[52:55], a[152:153], a[24:25], v[52:55]// 0000000070C4: D3E10034 1CD23198
	ds_read_b128 v[108:111], v12 offset:13056                  // 0000000070CC: D9FE3300 6C00000C
	ds_write_b32 v11, v32                                      // 0000000070D4: D81A0000 0000200B
	v_mfma_f32_16x16x16_bf16 v[52:55], a[154:155], a[26:27], v[52:55]// 0000000070DC: D3E10034 1CD2359A
	buffer_atomic_add_f32 v141, v8, s[32:35], 0 offen offset:256// 0000000070E4: E1341100 80088D08
	v_mfma_f32_16x16x16_bf16 v[52:55], a[156:157], a[28:29], v[52:55]// 0000000070EC: D3E10034 1CD2399C
	v_mfma_f32_16x16x16_bf16 v[52:55], a[158:159], a[30:31], v[52:55]// 0000000070F4: D3E10034 1CD23D9E
	ds_read_b128 v[112:115], v12 offset:13568                  // 0000000070FC: D9FE3500 7000000C
	ds_write_b32 v11, v33 offset:1056                          // 000000007104: D81A0420 0000210B
	v_mfma_f32_16x16x16_bf16 v[56:59], a[144:145], a[32:33], 0 // 00000000710C: D3E10038 1A024190
	buffer_atomic_add_f32 v142, v7, s[32:35], 0 offen offset:384// 000000007114: E1341180 80088E07
	v_mfma_f32_16x16x16_bf16 v[56:59], a[146:147], a[34:35], v[56:59]// 00000000711C: D3E10038 1CE24592
	v_mfma_f32_16x16x16_bf16 v[56:59], a[148:149], a[36:37], v[56:59]// 000000007124: D3E10038 1CE24994
	ds_read_b128 v[116:119], v12 offset:15232                  // 00000000712C: D9FE3B80 7400000C
	ds_write_b32 v11, v34 offset:128                           // 000000007134: D81A0080 0000220B
	v_mfma_f32_16x16x16_bf16 v[56:59], a[150:151], a[38:39], v[56:59]// 00000000713C: D3E10038 1CE24D96
	v_mfma_f32_16x16x16_bf16 v[56:59], a[152:153], a[40:41], v[56:59]// 000000007144: D3E10038 1CE25198
	buffer_atomic_add_f32 v143, v8, s[32:35], 0 offen offset:384// 00000000714C: E1341180 80088F08
	v_mfma_f32_16x16x16_bf16 v[56:59], a[154:155], a[42:43], v[56:59]// 000000007154: D3E10038 1CE2559A
	ds_read_b128 v[120:123], v12 offset:15744                  // 00000000715C: D9FE3D80 7800000C
	ds_write_b32 v11, v35 offset:1184                          // 000000007164: D81A04A0 0000230B
	v_mfma_f32_16x16x16_bf16 v[56:59], a[156:157], a[44:45], v[56:59]// 00000000716C: D3E10038 1CE2599C
	v_mfma_f32_16x16x16_bf16 v[56:59], a[158:159], a[46:47], v[56:59]// 000000007174: D3E10038 1CE25D9E
	s_cmp_lt_i32 s81, 0xc0                                     // 00000000717C: BF04FF51 000000C0
	s_cbranch_scc0 label_0D39                                  // 000000007184: BF84004D
	s_cmp_le_i32 s81, 64                                       // 000000007188: BF05C051
	s_cbranch_scc1 label_0CF0                                  // 00000000718C: BF850007
	s_cmp_le_i32 s81, 0x80                                     // 000000007190: BF05FF51 00000080
	s_cbranch_scc1 label_0D08                                  // 000000007198: BF850017
	s_cmp_lt_i32 s81, 0xc0                                     // 00000000719C: BF04FF51 000000C0
	s_cbranch_scc1 label_0D20                                  // 0000000071A4: BF85002C
	s_branch label_0D39                                        // 0000000071A8: BF820044

00000000000071ac <label_0CF0>:
	s_mov_b32 s60, 0                                           // 0000000071AC: BEBC0080
	v_and_b32_e32 v28, 15, v0                                  // 0000000071B0: 2638008F
	v_add_u32_e64 v28, v28, s60                                // 0000000071B4: D134001C 0000791C
	v_mul_i32_i24_e64 v29, s46, 16                             // 0000000071BC: D106001D 0001202E
	v_add_u32_e32 v28, v28, v29                                // 0000000071C4: 68383B1C
	v_cmp_lt_u32_e64 s[60:61], v28, s81                        // 0000000071C8: D0C9003C 0000A31C
	s_nop 1                                                    // 0000000071D0: BF800001
	v_cndmask_b32_e64 v48, v151, v48, s[60:61]                 // 0000000071D4: D1000030 00F26197
	v_cndmask_b32_e64 v49, v151, v49, s[60:61]                 // 0000000071DC: D1000031 00F26397
	v_cndmask_b32_e64 v50, v151, v50, s[60:61]                 // 0000000071E4: D1000032 00F26597
	v_cndmask_b32_e64 v51, v151, v51, s[60:61]                 // 0000000071EC: D1000033 00F26797
	s_branch label_0D1B                                        // 0000000071F4: BF820013

00000000000071f8 <label_0D08>:
	s_mov_b32 s60, 64                                          // 0000000071F8: BEBC00C0
	v_and_b32_e32 v28, 15, v0                                  // 0000000071FC: 2638008F
	v_add_u32_e64 v28, v28, s60                                // 000000007200: D134001C 0000791C
	v_mul_i32_i24_e64 v29, s46, 16                             // 000000007208: D106001D 0001202E
	v_add_u32_e32 v28, v28, v29                                // 000000007210: 68383B1C
	v_cmp_lt_u32_e64 s[60:61], v28, s81                        // 000000007214: D0C9003C 0000A31C
	s_nop 1                                                    // 00000000721C: BF800001
	v_cndmask_b32_e64 v52, v151, v52, s[60:61]                 // 000000007220: D1000034 00F26997
	v_cndmask_b32_e64 v53, v151, v53, s[60:61]                 // 000000007228: D1000035 00F26B97
	v_cndmask_b32_e64 v54, v151, v54, s[60:61]                 // 000000007230: D1000036 00F26D97
	v_cndmask_b32_e64 v55, v151, v55, s[60:61]                 // 000000007238: D1000037 00F26F97
	s_branch label_0D34                                        // 000000007240: BF820019

0000000000007244 <label_0D1B>:
	v_mov_b32_e32 v52, v151                                    // 000000007244: 7E680397
	v_mov_b32_e32 v53, v151                                    // 000000007248: 7E6A0397
	v_mov_b32_e32 v54, v151                                    // 00000000724C: 7E6C0397
	v_mov_b32_e32 v55, v151                                    // 000000007250: 7E6E0397
	s_branch label_0D34                                        // 000000007254: BF820014

0000000000007258 <label_0D20>:
	s_mov_b32 s60, 0x80                                        // 000000007258: BEBC00FF 00000080
	v_and_b32_e32 v28, 15, v0                                  // 000000007260: 2638008F
	v_add_u32_e64 v28, v28, s60                                // 000000007264: D134001C 0000791C
	v_mul_i32_i24_e64 v29, s46, 16                             // 00000000726C: D106001D 0001202E
	v_add_u32_e32 v28, v28, v29                                // 000000007274: 68383B1C
	v_cmp_lt_u32_e64 s[60:61], v28, s81                        // 000000007278: D0C9003C 0000A31C
	s_nop 1                                                    // 000000007280: BF800001
	v_cndmask_b32_e64 v56, v151, v56, s[60:61]                 // 000000007284: D1000038 00F27197
	v_cndmask_b32_e64 v57, v151, v57, s[60:61]                 // 00000000728C: D1000039 00F27397
	v_cndmask_b32_e64 v58, v151, v58, s[60:61]                 // 000000007294: D100003A 00F27597
	v_cndmask_b32_e64 v59, v151, v59, s[60:61]                 // 00000000729C: D100003B 00F27797
	s_branch label_0D39                                        // 0000000072A4: BF820005

00000000000072a8 <label_0D34>:
	v_mov_b32_e32 v56, v151                                    // 0000000072A8: 7E700397
	v_mov_b32_e32 v57, v151                                    // 0000000072AC: 7E720397
	v_mov_b32_e32 v58, v151                                    // 0000000072B0: 7E740397
	v_mov_b32_e32 v59, v151                                    // 0000000072B4: 7E760397
	s_branch label_0D39                                        // 0000000072B8: BF820000

00000000000072bc <label_0D39>:
	s_waitcnt lgkmcnt(8)                                       // 0000000072BC: BF8CC87F
	s_barrier                                                  // 0000000072C0: BF8A0000
	v_mfma_f32_16x16x16_bf16 v[72:75], v[92:93], a[96:97], 0   // 0000000072C4: D3E10048 1202C15C
	ds_read_b128 a[144:147], v12 offset:4352                   // 0000000072CC: DBFE1100 9000000C
	ds_read_b128 a[148:151], v12 offset:4864                   // 0000000072D4: DBFE1300 9400000C
	v_mfma_f32_16x16x16_bf16 v[72:75], v[94:95], a[98:99], v[72:75]// 0000000072DC: D3E10048 1522C55E
	v_fma_f32 v48, v48, s57, -v124                             // 0000000072E4: D1CB0030 85F07330
	v_fma_f32 v49, v49, s57, -v125                             // 0000000072EC: D1CB0031 85F47331
	v_fma_f32 v50, v50, s57, -v126                             // 0000000072F4: D1CB0032 85F87332
	v_mfma_f32_16x16x16_bf16 v[72:75], v[96:97], a[100:101], v[72:75]// 0000000072FC: D3E10048 1522C960
	v_fma_f32 v51, v51, s57, -v127                             // 000000007304: D1CB0033 85FC7333
	v_fma_f32 v52, v52, s57, -v124                             // 00000000730C: D1CB0034 85F07334
	v_fma_f32 v53, v53, s57, -v125                             // 000000007314: D1CB0035 85F47335
	v_mfma_f32_16x16x16_bf16 v[72:75], v[98:99], a[102:103], v[72:75]// 00000000731C: D3E10048 1522CD62
	v_fma_f32 v54, v54, s57, -v126                             // 000000007324: D1CB0036 85F87336
	v_fma_f32 v55, v55, s57, -v127                             // 00000000732C: D1CB0037 85FC7337
	v_fma_f32 v56, v56, s57, -v124                             // 000000007334: D1CB0038 85F07338
	v_mfma_f32_16x16x16_bf16 v[72:75], v[100:101], a[104:105], v[72:75]// 00000000733C: D3E10048 1522D164
	ds_read_b128 a[152:155], v12 offset:6528                   // 000000007344: DBFE1980 9800000C
	ds_read_b128 a[156:159], v12 offset:7040                   // 00000000734C: DBFE1B80 9C00000C
	v_mfma_f32_16x16x16_bf16 v[72:75], v[102:103], a[106:107], v[72:75]// 000000007354: D3E10048 1522D566
	v_fma_f32 v57, v57, s57, -v125                             // 00000000735C: D1CB0039 85F47339
	v_fma_f32 v58, v58, s57, -v126                             // 000000007364: D1CB003A 85F8733A
	v_fma_f32 v59, v59, s57, -v127                             // 00000000736C: D1CB003B 85FC733B
	v_mfma_f32_16x16x16_bf16 v[72:75], v[104:105], a[108:109], v[72:75]// 000000007374: D3E10048 1522D968
	v_exp_f32_e32 v48, v48                                     // 00000000737C: 7E604130
	v_mfma_f32_16x16x16_bf16 v[72:75], v[106:107], a[110:111], v[72:75]// 000000007380: D3E10048 1522DD6A
	v_exp_f32_e32 v49, v49                                     // 000000007388: 7E624131
	v_mfma_f32_16x16x16_bf16 v[76:79], v[92:93], a[112:113], 0 // 00000000738C: D3E1004C 1202E15C
	ds_read_b64 v[136:137], v19 offset:24320                   // 000000007394: D8EC5F00 88000013
	ds_read_b64 v[138:139], v19 offset:26368                   // 00000000739C: D8EC6700 8A000013
	v_mfma_f32_16x16x16_bf16 v[76:79], v[94:95], a[114:115], v[76:79]// 0000000073A4: D3E1004C 1532E55E
	v_exp_f32_e32 v50, v50                                     // 0000000073AC: 7E644132
	v_mfma_f32_16x16x16_bf16 v[76:79], v[96:97], a[116:117], v[76:79]// 0000000073B0: D3E1004C 1532E960
	ds_read_b64 v[140:141], v19 offset:28416                   // 0000000073B8: D8EC6F00 8C000013
	ds_read_b64 v[142:143], v19 offset:30464                   // 0000000073C0: D8EC7700 8E000013
	v_mfma_f32_16x16x16_bf16 v[76:79], v[98:99], a[118:119], v[76:79]// 0000000073C8: D3E1004C 1532ED62
	v_exp_f32_e32 v51, v51                                     // 0000000073D0: 7E664133
	v_mfma_f32_16x16x16_bf16 v[76:79], v[100:101], a[120:121], v[76:79]// 0000000073D4: D3E1004C 1532F164
	v_exp_f32_e32 v52, v52                                     // 0000000073DC: 7E684134
	v_mfma_f32_16x16x16_bf16 v[76:79], v[102:103], a[122:123], v[76:79]// 0000000073E0: D3E1004C 1532F566
	v_exp_f32_e32 v53, v53                                     // 0000000073E8: 7E6A4135
	v_mfma_f32_16x16x16_bf16 v[76:79], v[104:105], a[124:125], v[76:79]// 0000000073EC: D3E1004C 1532F968
	v_exp_f32_e32 v54, v54                                     // 0000000073F4: 7E6C4136
	v_mfma_f32_16x16x16_bf16 v[76:79], v[106:107], a[126:127], v[76:79]// 0000000073F8: D3E1004C 1532FD6A
	v_exp_f32_e32 v55, v55                                     // 000000007400: 7E6E4137
	v_mfma_f32_16x16x16_bf16 v[80:83], v[92:93], a[128:129], 0 // 000000007404: D3E10050 1203015C
	v_exp_f32_e32 v56, v56                                     // 00000000740C: 7E704138
	v_mfma_f32_16x16x16_bf16 v[80:83], v[94:95], a[130:131], v[80:83]// 000000007410: D3E10050 1543055E
	v_exp_f32_e32 v57, v57                                     // 000000007418: 7E724139
	v_mfma_f32_16x16x16_bf16 v[80:83], v[96:97], a[132:133], v[80:83]// 00000000741C: D3E10050 15430960
	v_exp_f32_e32 v58, v58                                     // 000000007424: 7E74413A
	v_mfma_f32_16x16x16_bf16 v[80:83], v[98:99], a[134:135], v[80:83]// 000000007428: D3E10050 15430D62
	v_exp_f32_e32 v59, v59                                     // 000000007430: 7E76413B
	v_mfma_f32_16x16x16_bf16 v[80:83], v[100:101], a[136:137], v[80:83]// 000000007434: D3E10050 15431164
	v_perm_b32 v144, v49, v48, s64                             // 00000000743C: D1ED0090 01026131
	v_perm_b32 v145, v51, v50, s64                             // 000000007444: D1ED0091 01026533
	v_perm_b32 v146, v53, v52, s64                             // 00000000744C: D1ED0092 01026935
	v_mfma_f32_16x16x16_bf16 v[80:83], v[102:103], a[138:139], v[80:83]// 000000007454: D3E10050 15431566
	v_perm_b32 v147, v55, v54, s64                             // 00000000745C: D1ED0093 01026D37
	v_perm_b32 v148, v57, v56, s64                             // 000000007464: D1ED0094 01027139
	v_perm_b32 v149, v59, v58, s64                             // 00000000746C: D1ED0095 0102753B
	v_mfma_f32_16x16x16_bf16 v[80:83], v[104:105], a[140:141], v[80:83]// 000000007474: D3E10050 15431968
	v_add_u32_e32 v7, s66, v7                                  // 00000000747C: 680E0E42
	v_add_u32_e32 v8, s66, v8                                  // 000000007480: 68101042
	v_mfma_f32_16x16x16_bf16 v[80:83], v[106:107], a[142:143], v[80:83]// 000000007484: D3E10050 15431D6A
	s_waitcnt lgkmcnt(0)                                       // 00000000748C: BF8CC07F
	s_barrier                                                  // 000000007490: BF8A0000
	v_mfma_f32_16x16x16_bf16 v[152:155], v[108:109], v[144:145], v[152:155]// 000000007494: D3E10098 0663216C
	v_subrev_f32_dpp v72, v150, v72 quad_perm:[0,0,0,0] row_mask:0xf bank_mask:0xf// 00000000749C: 069090FA FF000096
	v_subrev_f32_dpp v73, v150, v73 quad_perm:[1,1,1,1] row_mask:0xf bank_mask:0xf// 0000000074A4: 069292FA FF005596
	v_subrev_f32_dpp v74, v150, v74 quad_perm:[2,2,2,2] row_mask:0xf bank_mask:0xf// 0000000074AC: 069494FA FF00AA96
	v_mfma_f32_16x16x16_bf16 v[156:159], v[110:111], v[144:145], v[156:159]// 0000000074B4: D3E1009C 0673216E
	v_subrev_f32_dpp v75, v150, v75 quad_perm:[3,3,3,3] row_mask:0xf bank_mask:0xf// 0000000074BC: 069696FA FF00FF96
	v_subrev_f32_dpp v76, v150, v76 quad_perm:[0,0,0,0] row_mask:0xf bank_mask:0xf// 0000000074C4: 069898FA FF000096
	v_subrev_f32_dpp v77, v150, v77 quad_perm:[1,1,1,1] row_mask:0xf bank_mask:0xf// 0000000074CC: 069A9AFA FF005596
	v_mfma_f32_16x16x16_bf16 v[160:163], v[112:113], v[144:145], v[160:163]// 0000000074D4: D3E100A0 06832170
	v_mul_f32_e32 v72, v48, v72                                // 0000000074DC: 0A909130
	v_mul_f32_e32 v73, v49, v73                                // 0000000074E0: 0A929331
	v_mul_f32_e32 v74, v50, v74                                // 0000000074E4: 0A949532
	v_mfma_f32_16x16x16_bf16 v[164:167], v[114:115], v[144:145], v[164:167]// 0000000074E8: D3E100A4 06932172
	v_mul_f32_e32 v75, v51, v75                                // 0000000074F0: 0A969733
	v_mul_f32_e32 v76, v52, v76                                // 0000000074F4: 0A989934
	v_mul_f32_e32 v77, v53, v77                                // 0000000074F8: 0A9A9B35
	v_mfma_f32_16x16x16_bf16 v[168:171], v[116:117], v[144:145], v[168:171]// 0000000074FC: D3E100A8 06A32174
	v_perm_b32 v72, v73, v72, s64                              // 000000007504: D1ED0048 01029149
	v_perm_b32 v73, v75, v74, s64                              // 00000000750C: D1ED0049 0102954B
	v_perm_b32 v74, v77, v76, s64                              // 000000007514: D1ED004A 0102994D
	v_mfma_f32_16x16x16_bf16 v[172:175], v[118:119], v[144:145], v[172:175]// 00000000751C: D3E100AC 06B32176
	v_mov_b32_dpp v16, v72 quad_perm:[1,0,3,2] row_mask:0xf bank_mask:0xf// 000000007524: 7E2002FA FF00B148
	v_perm_b32 v48, v16, v72, v15                              // 00000000752C: D1ED0030 043E9110
	v_mov_b32_dpp v16, v73 quad_perm:[1,0,3,2] row_mask:0xf bank_mask:0xf// 000000007534: 7E2002FA FF00B149
	v_mfma_f32_16x16x16_bf16 v[176:179], v[120:121], v[144:145], v[176:179]// 00000000753C: D3E100B0 06C32178
	v_perm_b32 v49, v16, v73, v15                              // 000000007544: D1ED0031 043E9310
	v_mov_b32_dpp v16, v74 quad_perm:[1,0,3,2] row_mask:0xf bank_mask:0xf// 00000000754C: 7E2002FA FF00B14A
	v_perm_b32 v50, v16, v74, v15                              // 000000007554: D1ED0032 043E9510
	v_mfma_f32_16x16x16_bf16 v[180:183], v[122:123], v[144:145], v[180:183]// 00000000755C: D3E100B4 06D3217A
	ds_write_b32 v18, v48 offset:17408                         // 000000007564: D81A4400 00003012
	v_mfma_f32_16x16x16_bf16 v[184:187], v[108:109], v[146:147], v[184:187]// 00000000756C: D3E100B8 06E3256C
	v_subrev_f32_dpp v78, v150, v78 quad_perm:[2,2,2,2] row_mask:0xf bank_mask:0xf// 000000007574: 069C9CFA FF00AA96
	v_subrev_f32_dpp v79, v150, v79 quad_perm:[3,3,3,3] row_mask:0xf bank_mask:0xf// 00000000757C: 069E9EFA FF00FF96
	v_subrev_f32_dpp v80, v150, v80 quad_perm:[0,0,0,0] row_mask:0xf bank_mask:0xf// 000000007584: 06A0A0FA FF000096
	v_mfma_f32_16x16x16_bf16 v[188:191], v[110:111], v[146:147], v[188:191]// 00000000758C: D3E100BC 06F3256E
	ds_write_b32 v18, v49 offset:17952                         // 000000007594: D81A4620 00003112
	v_mfma_f32_16x16x16_bf16 v[192:195], v[112:113], v[146:147], v[192:195]// 00000000759C: D3E100C0 07032570
	v_subrev_f32_dpp v81, v150, v81 quad_perm:[1,1,1,1] row_mask:0xf bank_mask:0xf// 0000000075A4: 06A2A2FA FF005596
	v_subrev_f32_dpp v82, v150, v82 quad_perm:[2,2,2,2] row_mask:0xf bank_mask:0xf// 0000000075AC: 06A4A4FA FF00AA96
	v_subrev_f32_dpp v83, v150, v83 quad_perm:[3,3,3,3] row_mask:0xf bank_mask:0xf// 0000000075B4: 06A6A6FA FF00FF96
	v_mfma_f32_16x16x16_bf16 v[196:199], v[114:115], v[146:147], v[196:199]// 0000000075BC: D3E100C4 07132572
	ds_write_b32 v18, v50 offset:19712                         // 0000000075C4: D81A4D00 00003212
	v_mfma_f32_16x16x16_bf16 v[200:203], v[116:117], v[146:147], v[200:203]// 0000000075CC: D3E100C8 07232574
	v_mul_f32_e32 v78, v54, v78                                // 0000000075D4: 0A9C9D36
	v_mul_f32_e32 v79, v55, v79                                // 0000000075D8: 0A9E9F37
	v_mul_f32_e32 v80, v56, v80                                // 0000000075DC: 0AA0A138
	v_mfma_f32_16x16x16_bf16 v[204:207], v[118:119], v[146:147], v[204:207]// 0000000075E0: D3E100CC 07332576
	v_mul_f32_e32 v81, v57, v81                                // 0000000075E8: 0AA2A339
	v_mul_f32_e32 v82, v58, v82                                // 0000000075EC: 0AA4A53A
	v_mul_f32_e32 v83, v59, v83                                // 0000000075F0: 0AA6A73B
	v_mfma_f32_16x16x16_bf16 v[208:211], v[120:121], v[146:147], v[208:211]// 0000000075F4: D3E100D0 07432578
	v_perm_b32 v75, v79, v78, s64                              // 0000000075FC: D1ED004B 01029D4F
	v_perm_b32 v76, v81, v80, s64                              // 000000007604: D1ED004C 0102A151
	v_perm_b32 v77, v83, v82, s64                              // 00000000760C: D1ED004D 0102A553
	v_mfma_f32_16x16x16_bf16 v[212:215], v[122:123], v[146:147], v[212:215]// 000000007614: D3E100D4 0753257A
	v_mov_b32_dpp v16, v75 quad_perm:[1,0,3,2] row_mask:0xf bank_mask:0xf// 00000000761C: 7E2002FA FF00B14B
	v_perm_b32 v51, v16, v75, v15                              // 000000007624: D1ED0033 043E9710
	v_mov_b32_dpp v16, v76 quad_perm:[1,0,3,2] row_mask:0xf bank_mask:0xf// 00000000762C: 7E2002FA FF00B14C
	v_mfma_f32_16x16x16_bf16 v[216:219], v[108:109], v[148:149], v[216:219]// 000000007634: D3E100D8 0763296C
	v_perm_b32 v52, v16, v76, v15                              // 00000000763C: D1ED0034 043E9910
	v_mov_b32_dpp v16, v77 quad_perm:[1,0,3,2] row_mask:0xf bank_mask:0xf// 000000007644: 7E2002FA FF00B14D
	v_perm_b32 v53, v16, v77, v15                              // 00000000764C: D1ED0035 043E9B10
	v_mfma_f32_16x16x16_bf16 v[220:223], v[110:111], v[148:149], v[220:223]// 000000007654: D3E100DC 0773296E
	ds_write_b32 v18, v51 offset:20256                         // 00000000765C: D81A4F20 00003312
	v_mfma_f32_16x16x16_bf16 v[224:227], v[112:113], v[148:149], v[224:227]// 000000007664: D3E100E0 07832970
	v_mfma_f32_16x16x16_bf16 v[228:231], v[114:115], v[148:149], v[228:231]// 00000000766C: D3E100E4 07932972
	ds_write_b32 v18, v52 offset:22016                         // 000000007674: D81A5600 00003412
	ds_write_b32 v18, v53 offset:22560                         // 00000000767C: D81A5820 00003512
	v_mfma_f32_16x16x16_bf16 v[232:235], v[116:117], v[148:149], v[232:235]// 000000007684: D3E100E8 07A32974
	v_mfma_f32_16x16x16_bf16 v[236:239], v[118:119], v[148:149], v[236:239]// 00000000768C: D3E100EC 07B32976
	ds_write_b32 v13, v84 offset:4352                          // 000000007694: D81A1100 0000540D
	ds_write_b32 v13, v85 offset:5408                          // 00000000769C: D81A1520 0000550D
	v_mfma_f32_16x16x16_bf16 v[240:243], v[120:121], v[148:149], v[240:243]// 0000000076A4: D3E100F0 07C32978
	s_nop 0                                                    // 0000000076AC: BF800000
	s_nop 0                                                    // 0000000076B0: BF800000
	s_nop 0                                                    // 0000000076B4: BF800000
	v_mfma_f32_16x16x16_bf16 v[244:247], v[122:123], v[148:149], v[244:247]// 0000000076B8: D3E100F4 07D3297A
	ds_write_b32 v13, v86 offset:4480                          // 0000000076C0: D81A1180 0000560D
	ds_write_b32 v13, v87 offset:5536                          // 0000000076C8: D81A15A0 0000570D
	s_barrier                                                  // 0000000076D0: BF8A0000
	v_mfma_f32_16x16x16_bf16 a[160:163], a[144:145], v[72:73], a[160:163]// 0000000076D4: D3E180A0 0E829190
	buffer_atomic_add_f32 v136, v7, s[32:35], 0 offen          // 0000000076DC: E1341000 80088807
	v_mfma_f32_16x16x16_bf16 a[164:167], a[146:147], v[72:73], a[164:167]// 0000000076E4: D3E180A4 0E929192
	ds_read_b32 v124, v21 offset:50688                         // 0000000076EC: D86CC600 7C000015
	ds_read_b32 v150, v21 offset:50944                         // 0000000076F4: D86CC700 96000015
	v_mfma_f32_16x16x16_bf16 a[168:171], a[148:149], v[72:73], a[168:171]// 0000000076FC: D3E180A8 0EA29194
	s_waitcnt lgkmcnt(6)                                       // 000000007704: BF8CC67F
	s_barrier                                                  // 000000007708: BF8A0000
	v_mfma_f32_16x16x16_bf16 a[172:175], a[150:151], v[72:73], a[172:175]// 00000000770C: D3E180AC 0EB29196
	ds_read_b128 v[48:51], v17 offset:17408                    // 000000007714: D9FE4400 30000011
	v_mfma_f32_16x16x16_bf16 a[176:179], a[152:153], v[72:73], a[176:179]// 00000000771C: D3E180B0 0EC29198
	v_mfma_f32_16x16x16_bf16 a[180:183], a[154:155], v[72:73], a[180:183]// 000000007724: D3E180B4 0ED2919A
	ds_read_b128 v[52:55], v17 offset:18560                    // 00000000772C: D9FE4880 34000011
	v_mfma_f32_16x16x16_bf16 a[184:187], a[156:157], v[72:73], a[184:187]// 000000007734: D3E180B8 0EE2919C
	buffer_atomic_add_f32 v137, v8, s[32:35], 0 offen          // 00000000773C: E1341000 80088908
	v_mfma_f32_16x16x16_bf16 a[188:191], a[158:159], v[72:73], a[188:191]// 000000007744: D3E180BC 0EF2919E
	ds_read_b128 v[56:59], v17 offset:19712                    // 00000000774C: D9FE4D00 38000011
	v_mfma_f32_16x16x16_bf16 a[192:195], a[144:145], v[74:75], a[192:195]// 000000007754: D3E180C0 0F029590
	v_mfma_f32_16x16x16_bf16 a[196:199], a[146:147], v[74:75], a[196:199]// 00000000775C: D3E180C4 0F129592
	ds_read_b128 v[60:63], v17 offset:20864                    // 000000007764: D9FE5180 3C000011
	v_mfma_f32_16x16x16_bf16 a[200:203], a[148:149], v[74:75], a[200:203]// 00000000776C: D3E180C8 0F229594
	v_mfma_f32_16x16x16_bf16 a[204:207], a[150:151], v[74:75], a[204:207]// 000000007774: D3E180CC 0F329596
	ds_read_b128 v[64:67], v17 offset:22016                    // 00000000777C: D9FE5600 40000011
	v_mfma_f32_16x16x16_bf16 a[208:211], a[152:153], v[74:75], a[208:211]// 000000007784: D3E180D0 0F429598
	buffer_atomic_add_f32 v138, v7, s[32:35], 0 offen offset:128// 00000000778C: E1341080 80088A07
	v_mfma_f32_16x16x16_bf16 a[212:215], a[154:155], v[74:75], a[212:215]// 000000007794: D3E180D4 0F52959A
	ds_read_b128 v[68:71], v17 offset:23168                    // 00000000779C: D9FE5A80 44000011
	v_mfma_f32_16x16x16_bf16 a[216:219], a[156:157], v[74:75], a[216:219]// 0000000077A4: D3E180D8 0F62959C
	v_mfma_f32_16x16x16_bf16 a[220:223], a[158:159], v[74:75], a[220:223]// 0000000077AC: D3E180DC 0F72959E
	ds_write_b32 v13, v88 offset:13056                         // 0000000077B4: D81A3300 0000580D
	v_mfma_f32_16x16x16_bf16 a[224:227], a[144:145], v[76:77], a[224:227]// 0000000077BC: D3E180E0 0F829990
	v_mfma_f32_16x16x16_bf16 a[228:231], a[146:147], v[76:77], a[228:231]// 0000000077C4: D3E180E4 0F929992
	ds_write_b32 v13, v89 offset:14112                         // 0000000077CC: D81A3720 0000590D
	v_mfma_f32_16x16x16_bf16 a[232:235], a[148:149], v[76:77], a[232:235]// 0000000077D4: D3E180E8 0FA29994
	buffer_atomic_add_f32 v139, v8, s[32:35], 0 offen offset:128// 0000000077DC: E1341080 80088B08
	v_mfma_f32_16x16x16_bf16 a[236:239], a[150:151], v[76:77], a[236:239]// 0000000077E4: D3E180EC 0FB29996
	ds_write_b32 v13, v90 offset:13184                         // 0000000077EC: D81A3380 00005A0D
	v_mfma_f32_16x16x16_bf16 a[240:243], a[152:153], v[76:77], a[240:243]// 0000000077F4: D3E180F0 0FC29998
	v_mfma_f32_16x16x16_bf16 a[244:247], a[154:155], v[76:77], a[244:247]// 0000000077FC: D3E180F4 0FD2999A
	ds_write_b32 v13, v91 offset:14240                         // 000000007804: D81A37A0 00005B0D
	v_mfma_f32_16x16x16_bf16 a[248:251], a[156:157], v[76:77], a[248:251]// 00000000780C: D3E180F8 0FE2999C
	v_mfma_f32_16x16x16_bf16 a[252:255], a[158:159], v[76:77], a[252:255]// 000000007814: D3E180FC 0FF2999E
	s_waitcnt vmcnt(8) lgkmcnt(4)                              // 00000000781C: BF8C0478
	s_barrier                                                  // 000000007820: BF8A0000
	v_mfma_f32_16x16x16_bf16 v[128:131], v[48:49], a[48:49], 0 // 000000007824: D3E10080 12026130
	v_mul_f32_e32 v124, s48, v124                              // 00000000782C: 0AF8F830
	s_nop 0                                                    // 000000007830: BF800000
	v_mfma_f32_16x16x16_bf16 v[128:131], v[50:51], a[52:53], v[128:131]// 000000007834: D3E10080 16026932
	ds_read_b128 a[144:147], v10                               // 00000000783C: DBFE0000 9000000A
	v_mov_b32_e32 v32, 0                                       // 000000007844: 7E400280
	s_mov_b64 exec, s[78:79]                                   // 000000007848: BEFE014E
	buffer_load_dword v32, v1, s[8:11], 0 idxen                // 00000000784C: E0502000 80022001
	s_mov_b64 exec, s[84:85]                                   // 000000007854: BEFE0154
	v_mfma_f32_16x16x16_bf16 v[128:131], v[52:53], a[56:57], v[128:131]// 000000007858: D3E10080 16027134
	v_mfma_f32_16x16x16_bf16 v[128:131], v[54:55], a[60:61], v[128:131]// 000000007860: D3E10080 16027936
	ds_read_b128 a[148:151], v10 offset:512                    // 000000007868: DBFE0200 9400000A
	v_mov_b32_e32 v33, 0                                       // 000000007870: 7E420280
	s_mov_b64 exec, s[78:79]                                   // 000000007874: BEFE014E
	buffer_load_dword v33, v2, s[8:11], 0 idxen                // 000000007878: E0502000 80022102
	s_mov_b64 exec, s[84:85]                                   // 000000007880: BEFE0154
	v_mfma_f32_16x16x16_bf16 v[128:131], v[56:57], a[64:65], v[128:131]// 000000007884: D3E10080 16028138
	v_perm_b32 v84, v37, v36, s63                              // 00000000788C: D1ED0054 00FE4925
	v_perm_b32 v85, v37, v36, s64                              // 000000007894: D1ED0055 01024925
	v_mfma_f32_16x16x16_bf16 v[128:131], v[58:59], a[68:69], v[128:131]// 00000000789C: D3E10080 1602893A
	ds_read_b128 a[152:155], v10 offset:2176                   // 0000000078A4: DBFE0880 9800000A
	v_mov_b32_e32 v34, 0                                       // 0000000078AC: 7E440280
	s_mov_b64 exec, s[78:79]                                   // 0000000078B0: BEFE014E
	buffer_load_dword v34, v3, s[8:11], 0 idxen                // 0000000078B4: E0502000 80022203
	s_mov_b64 exec, s[84:85]                                   // 0000000078BC: BEFE0154
	v_mfma_f32_16x16x16_bf16 v[128:131], v[60:61], a[72:73], v[128:131]// 0000000078C0: D3E10080 1602913C
	v_perm_b32 v86, v39, v38, s63                              // 0000000078C8: D1ED0056 00FE4D27
	v_perm_b32 v87, v39, v38, s64                              // 0000000078D0: D1ED0057 01024D27
	v_mfma_f32_16x16x16_bf16 v[128:131], v[62:63], a[76:77], v[128:131]// 0000000078D8: D3E10080 1602993E
	ds_read_b128 a[156:159], v10 offset:2688                   // 0000000078E0: DBFE0A80 9C00000A
	v_mov_b32_e32 v35, 0                                       // 0000000078E8: 7E460280
	s_mov_b64 exec, s[78:79]                                   // 0000000078EC: BEFE014E
	buffer_load_dword v35, v4, s[8:11], 0 idxen                // 0000000078F0: E0502000 80022304
	s_mov_b64 exec, s[84:85]                                   // 0000000078F8: BEFE0154
	v_mfma_f32_16x16x16_bf16 v[128:131], v[64:65], a[80:81], v[128:131]// 0000000078FC: D3E10080 1602A140
	v_perm_b32 v88, v45, v44, s63                              // 000000007904: D1ED0058 00FE592D
	v_perm_b32 v89, v45, v44, s64                              // 00000000790C: D1ED0059 0102592D
	v_mfma_f32_16x16x16_bf16 v[128:131], v[66:67], a[84:85], v[128:131]// 000000007914: D3E10080 1602A942
	ds_read_b128 v[92:95], v10 offset:8704                     // 00000000791C: D9FE2200 5C00000A
	v_mov_b32_e32 v40, 0                                       // 000000007924: 7E500280
	s_mov_b64 exec, s[78:79]                                   // 000000007928: BEFE014E
	buffer_load_dword v40, v252, s[20:23], 0 idxen             // 00000000792C: E0502000 800528FC
	s_mov_b64 exec, s[84:85]                                   // 000000007934: BEFE0154
	v_mfma_f32_16x16x16_bf16 v[128:131], v[68:69], a[88:89], v[128:131]// 000000007938: D3E10080 1602B144
	v_perm_b32 v90, v47, v46, s63                              // 000000007940: D1ED005A 00FE5D2F
	v_perm_b32 v91, v47, v46, s64                              // 000000007948: D1ED005B 01025D2F
	v_mfma_f32_16x16x16_bf16 v[128:131], v[70:71], a[92:93], v[128:131]// 000000007950: D3E10080 1602B946
	ds_read_b128 v[96:99], v10 offset:9216                     // 000000007958: D9FE2400 6000000A
	v_mov_b32_e32 v41, 0                                       // 000000007960: 7E520280
	s_mov_b64 exec, s[78:79]                                   // 000000007964: BEFE014E
	buffer_load_dword v41, v253, s[20:23], 0 idxen             // 000000007968: E0502000 800529FD
	s_mov_b64 exec, s[84:85]                                   // 000000007970: BEFE0154
	v_mfma_f32_16x16x16_bf16 v[132:135], v[48:49], a[50:51], 0 // 000000007974: D3E10084 12026530
	v_mov_b32_dpp v127, v124 quad_perm:[3,3,3,3] row_mask:0xf bank_mask:0xf// 00000000797C: 7EFE02FA FF00FF7C
	v_mov_b32_dpp v126, v124 quad_perm:[2,2,2,2] row_mask:0xf bank_mask:0xf// 000000007984: 7EFC02FA FF00AA7C
	v_mfma_f32_16x16x16_bf16 v[132:135], v[50:51], a[54:55], v[132:135]// 00000000798C: D3E10084 16126D32
	ds_read_b128 v[100:103], v10 offset:10880                  // 000000007994: D9FE2A80 6400000A
	v_mov_b32_e32 v42, 0                                       // 00000000799C: 7E540280
	s_mov_b64 exec, s[78:79]                                   // 0000000079A0: BEFE014E
	buffer_load_dword v42, v254, s[20:23], 0 idxen             // 0000000079A4: E0502000 80052AFE
	s_mov_b64 exec, s[84:85]                                   // 0000000079AC: BEFE0154
	v_mfma_f32_16x16x16_bf16 v[132:135], v[52:53], a[58:59], v[132:135]// 0000000079B0: D3E10084 16127534
	v_mov_b32_dpp v125, v124 quad_perm:[1,1,1,1] row_mask:0xf bank_mask:0xf// 0000000079B8: 7EFA02FA FF00557C
	v_mov_b32_dpp v124, v124 quad_perm:[0,0,0,0] row_mask:0xf bank_mask:0xf// 0000000079C0: 7EF802FA FF00007C
	s_add_u32 s60, 64, s59                                     // 0000000079C8: 803C3BC0
	v_mfma_f32_16x16x16_bf16 v[132:135], v[54:55], a[62:63], v[132:135]// 0000000079CC: D3E10084 16127D36
	ds_read_b128 v[104:107], v10 offset:11392                  // 0000000079D4: D9FE2C80 6800000A
	v_mov_b32_e32 v43, 0                                       // 0000000079DC: 7E560280
	s_mov_b64 exec, s[78:79]                                   // 0000000079E0: BEFE014E
	buffer_load_dword v43, v255, s[20:23], 0 idxen             // 0000000079E4: E0502000 80052BFF
	s_mov_b64 exec, s[84:85]                                   // 0000000079EC: BEFE0154
	v_mfma_f32_16x16x16_bf16 v[132:135], v[56:57], a[66:67], v[132:135]// 0000000079F0: D3E10084 16128538
	s_cmp_lt_u32 s60, s58                                      // 0000000079F8: BF0A3A3C
	s_cselect_b32 s68, s68, 0                                  // 0000000079FC: 85448044
	s_cselect_b32 s101, s101, 0                                // 000000007A00: 85658065
	s_cselect_b32 s69, s69, 0                                  // 000000007A04: 85458045
	v_mfma_f32_16x16x16_bf16 v[132:135], v[58:59], a[70:71], v[132:135]// 000000007A08: D3E10084 16128D3A
	buffer_load_dword v9, s[24:27], 0 idxen lds                // 000000007A10: E0512000 80060009
	v_mfma_f32_16x16x16_bf16 v[132:135], v[60:61], a[74:75], v[132:135]// 000000007A18: D3E10084 1612953C
	v_add_u32_e32 v1, s68, v1                                  // 000000007A20: 68020244
	v_add_u32_e32 v2, s68, v2                                  // 000000007A24: 68040444
	v_add_u32_e32 v3, s68, v3                                  // 000000007A28: 68060644
	v_add_u32_e32 v4, s68, v4                                  // 000000007A2C: 68080844
	v_mfma_f32_16x16x16_bf16 v[132:135], v[62:63], a[78:79], v[132:135]// 000000007A30: D3E10084 16129D3E
	v_add_u32_e32 v252, s101, v252                             // 000000007A38: 69F9F865
	v_add_u32_e32 v253, s101, v253                             // 000000007A3C: 69FBFA65
	v_add_u32_e32 v254, s101, v254                             // 000000007A40: 69FDFC65
	v_add_u32_e32 v255, s101, v255                             // 000000007A44: 69FFFE65
	v_mfma_f32_16x16x16_bf16 v[132:135], v[64:65], a[82:83], v[132:135]// 000000007A48: D3E10084 1612A540
	s_mov_b32 m0, s77                                          // 000000007A50: BEFC004D
	v_add_u32_e32 v9, s69, v9                                  // 000000007A54: 68121245
	v_mfma_f32_16x16x16_bf16 v[132:135], v[66:67], a[86:87], v[132:135]// 000000007A58: D3E10084 1612AD42
	s_cmp_ge_u32 s59, 16                                       // 000000007A60: BF09903B
	s_cselect_b32 s66, s67, s66                                // 000000007A64: 85424243
	v_mfma_f32_16x16x16_bf16 v[132:135], v[68:69], a[90:91], v[132:135]// 000000007A68: D3E10084 1612B544
	s_addk_i32 s59, 0x10                                       // 000000007A70: B73B0010
	s_nop 0                                                    // 000000007A74: BF800000
	s_cmp_lt_i32 s59, s58                                      // 000000007A78: BF043A3B
	v_mfma_f32_16x16x16_bf16 v[132:135], v[70:71], a[94:95], v[132:135]// 000000007A7C: D3E10084 1612BD46
	s_cbranch_scc0 label_0F2D                                  // 000000007A84: BF840001
	s_branch label_09D8                                        // 000000007A88: BF82FAB5

0000000000007a8c <label_0F2D>:
	s_nop 0                                                    // 000000007A8C: BF800000
	s_nop 0                                                    // 000000007A90: BF800000
	s_branch label_1485                                        // 000000007A94: BF82054B

0000000000007a98 <label_0F30>:
	s_waitcnt lgkmcnt(0)                                       // 000000007A98: BF8CC07F
	s_barrier                                                  // 000000007A9C: BF8A0000
	v_mfma_f32_16x16x16_bf16 v[48:51], a[144:145], a[0:1], 0   // 000000007AA0: D3E10030 1A020190
	v_mul_f32_e32 v128, s47, v128                              // 000000007AA8: 0B01002F
	v_mul_f32_e32 v129, s47, v129                              // 000000007AAC: 0B03022F
	v_mfma_f32_16x16x16_bf16 v[48:51], a[146:147], a[2:3], v[48:51]// 000000007AB0: D3E10030 1CC20592
	ds_write_b32 v11, v44 offset:8704                          // 000000007AB8: D81A2200 00002C0B
	ds_write_b32 v11, v45 offset:9760                          // 000000007AC0: D81A2620 00002D0B
	v_mfma_f32_16x16x16_bf16 v[48:51], a[148:149], a[4:5], v[48:51]// 000000007AC8: D3E10030 1CC20994
	v_mul_f32_e32 v130, s47, v130                              // 000000007AD0: 0B05042F
	v_mul_f32_e32 v131, s47, v131                              // 000000007AD4: 0B07062F
	v_mfma_f32_16x16x16_bf16 v[48:51], a[150:151], a[6:7], v[48:51]// 000000007AD8: D3E10030 1CC20D96
	ds_write_b32 v11, v46 offset:8832                          // 000000007AE0: D81A2280 00002E0B
	ds_write_b32 v11, v47 offset:9888                          // 000000007AE8: D81A26A0 00002F0B
	v_mfma_f32_16x16x16_bf16 v[48:51], a[152:153], a[8:9], v[48:51]// 000000007AF0: D3E10030 1CC21198
	v_mul_f32_e32 v132, s47, v132                              // 000000007AF8: 0B09082F
	v_mul_f32_e32 v133, s47, v133                              // 000000007AFC: 0B0B0A2F
	v_mfma_f32_16x16x16_bf16 v[48:51], a[154:155], a[10:11], v[48:51]// 000000007B00: D3E10030 1CC2159A
	ds_write_b64 v20, v[128:129] offset:24320                  // 000000007B08: D89A5F00 00008014
	v_mfma_f32_16x16x16_bf16 v[48:51], a[156:157], a[12:13], v[48:51]// 000000007B10: D3E10030 1CC2199C
	v_mul_f32_e32 v134, s47, v134                              // 000000007B18: 0B0D0C2F
	v_mul_f32_e32 v135, s47, v135                              // 000000007B1C: 0B0F0E2F
	v_mfma_f32_16x16x16_bf16 v[48:51], a[158:159], a[14:15], v[48:51]// 000000007B20: D3E10030 1CC21D9E
	ds_write_b64 v20, v[130:131] offset:24832                  // 000000007B28: D89A6100 00008214
	v_mfma_f32_16x16x16_bf16 v[52:55], a[144:145], a[16:17], 0 // 000000007B30: D3E10034 1A022190
	buffer_atomic_add_f32 v140, v7, s[32:35], 0 offen offset:256// 000000007B38: E1341100 80088C07
	v_mfma_f32_16x16x16_bf16 v[52:55], a[146:147], a[18:19], v[52:55]// 000000007B40: D3E10034 1CD22592
	ds_write_b64 v20, v[132:133] offset:25344                  // 000000007B48: D89A6300 00008414
	v_mfma_f32_16x16x16_bf16 v[52:55], a[148:149], a[20:21], v[52:55]// 000000007B50: D3E10034 1CD22994
	v_mfma_f32_16x16x16_bf16 v[52:55], a[150:151], a[22:23], v[52:55]// 000000007B58: D3E10034 1CD22D96
	ds_write_b64 v20, v[134:135] offset:25856                  // 000000007B60: D89A6500 00008614
	v_mfma_f32_16x16x16_bf16 v[52:55], a[152:153], a[24:25], v[52:55]// 000000007B68: D3E10034 1CD23198
	buffer_atomic_add_f32 v141, v8, s[32:35], 0 offen offset:256// 000000007B70: E1341100 80088D08
	v_mfma_f32_16x16x16_bf16 v[52:55], a[154:155], a[26:27], v[52:55]// 000000007B78: D3E10034 1CD2359A
	ds_read_b128 v[108:111], v12 offset:13056                  // 000000007B80: D9FE3300 6C00000C
	ds_write_b32 v11, v36                                      // 000000007B88: D81A0000 0000240B
	v_mfma_f32_16x16x16_bf16 v[52:55], a[156:157], a[28:29], v[52:55]// 000000007B90: D3E10034 1CD2399C
	v_mfma_f32_16x16x16_bf16 v[52:55], a[158:159], a[30:31], v[52:55]// 000000007B98: D3E10034 1CD23D9E
	v_mfma_f32_16x16x16_bf16 v[56:59], a[144:145], a[32:33], 0 // 000000007BA0: D3E10038 1A024190
	ds_read_b128 v[112:115], v12 offset:13568                  // 000000007BA8: D9FE3500 7000000C
	ds_write_b32 v11, v37 offset:1056                          // 000000007BB0: D81A0420 0000250B
	v_mfma_f32_16x16x16_bf16 v[56:59], a[146:147], a[34:35], v[56:59]// 000000007BB8: D3E10038 1CE24592
	buffer_atomic_add_f32 v142, v7, s[32:35], 0 offen offset:384// 000000007BC0: E1341180 80088E07
	v_mfma_f32_16x16x16_bf16 v[56:59], a[148:149], a[36:37], v[56:59]// 000000007BC8: D3E10038 1CE24994
	v_mfma_f32_16x16x16_bf16 v[56:59], a[150:151], a[38:39], v[56:59]// 000000007BD0: D3E10038 1CE24D96
	ds_read_b128 v[116:119], v12 offset:15232                  // 000000007BD8: D9FE3B80 7400000C
	ds_write_b32 v11, v38 offset:128                           // 000000007BE0: D81A0080 0000260B
	v_mfma_f32_16x16x16_bf16 v[56:59], a[152:153], a[40:41], v[56:59]// 000000007BE8: D3E10038 1CE25198
	v_mfma_f32_16x16x16_bf16 v[56:59], a[154:155], a[42:43], v[56:59]// 000000007BF0: D3E10038 1CE2559A
	buffer_atomic_add_f32 v143, v8, s[32:35], 0 offen offset:384// 000000007BF8: E1341180 80088F08
	v_mfma_f32_16x16x16_bf16 v[56:59], a[156:157], a[44:45], v[56:59]// 000000007C00: D3E10038 1CE2599C
	ds_read_b128 v[120:123], v12 offset:15744                  // 000000007C08: D9FE3D80 7800000C
	ds_write_b32 v11, v39 offset:1184                          // 000000007C10: D81A04A0 0000270B
	v_mfma_f32_16x16x16_bf16 v[56:59], a[158:159], a[46:47], v[56:59]// 000000007C18: D3E10038 1CE25D9E
	s_cmp_lt_i32 s81, 0xc0                                     // 000000007C20: BF04FF51 000000C0
	s_cbranch_scc0 label_0FE7                                  // 000000007C28: BF84004D
	s_cmp_le_i32 s81, 64                                       // 000000007C2C: BF05C051
	s_cbranch_scc1 label_0F9E                                  // 000000007C30: BF850007
	s_cmp_le_i32 s81, 0x80                                     // 000000007C34: BF05FF51 00000080
	s_cbranch_scc1 label_0FB6                                  // 000000007C3C: BF850017
	s_cmp_lt_i32 s81, 0xc0                                     // 000000007C40: BF04FF51 000000C0
	s_cbranch_scc1 label_0FCE                                  // 000000007C48: BF85002C
	s_branch label_0FE7                                        // 000000007C4C: BF820044

0000000000007c50 <label_0F9E>:
	s_mov_b32 s60, 0                                           // 000000007C50: BEBC0080
	v_and_b32_e32 v28, 15, v0                                  // 000000007C54: 2638008F
	v_add_u32_e64 v28, v28, s60                                // 000000007C58: D134001C 0000791C
	v_mul_i32_i24_e64 v29, s46, 16                             // 000000007C60: D106001D 0001202E
	v_add_u32_e32 v28, v28, v29                                // 000000007C68: 68383B1C
	v_cmp_lt_u32_e64 s[60:61], v28, s81                        // 000000007C6C: D0C9003C 0000A31C
	s_nop 1                                                    // 000000007C74: BF800001
	v_cndmask_b32_e64 v48, v151, v48, s[60:61]                 // 000000007C78: D1000030 00F26197
	v_cndmask_b32_e64 v49, v151, v49, s[60:61]                 // 000000007C80: D1000031 00F26397
	v_cndmask_b32_e64 v50, v151, v50, s[60:61]                 // 000000007C88: D1000032 00F26597
	v_cndmask_b32_e64 v51, v151, v51, s[60:61]                 // 000000007C90: D1000033 00F26797
	s_branch label_0FC9                                        // 000000007C98: BF820013

0000000000007c9c <label_0FB6>:
	s_mov_b32 s60, 64                                          // 000000007C9C: BEBC00C0
	v_and_b32_e32 v28, 15, v0                                  // 000000007CA0: 2638008F
	v_add_u32_e64 v28, v28, s60                                // 000000007CA4: D134001C 0000791C
	v_mul_i32_i24_e64 v29, s46, 16                             // 000000007CAC: D106001D 0001202E
	v_add_u32_e32 v28, v28, v29                                // 000000007CB4: 68383B1C
	v_cmp_lt_u32_e64 s[60:61], v28, s81                        // 000000007CB8: D0C9003C 0000A31C
	s_nop 1                                                    // 000000007CC0: BF800001
	v_cndmask_b32_e64 v52, v151, v52, s[60:61]                 // 000000007CC4: D1000034 00F26997
	v_cndmask_b32_e64 v53, v151, v53, s[60:61]                 // 000000007CCC: D1000035 00F26B97
	v_cndmask_b32_e64 v54, v151, v54, s[60:61]                 // 000000007CD4: D1000036 00F26D97
	v_cndmask_b32_e64 v55, v151, v55, s[60:61]                 // 000000007CDC: D1000037 00F26F97
	s_branch label_0FE2                                        // 000000007CE4: BF820019

0000000000007ce8 <label_0FC9>:
	v_mov_b32_e32 v52, v151                                    // 000000007CE8: 7E680397
	v_mov_b32_e32 v53, v151                                    // 000000007CEC: 7E6A0397
	v_mov_b32_e32 v54, v151                                    // 000000007CF0: 7E6C0397
	v_mov_b32_e32 v55, v151                                    // 000000007CF4: 7E6E0397
	s_branch label_0FE2                                        // 000000007CF8: BF820014

0000000000007cfc <label_0FCE>:
	s_mov_b32 s60, 0x80                                        // 000000007CFC: BEBC00FF 00000080
	v_and_b32_e32 v28, 15, v0                                  // 000000007D04: 2638008F
	v_add_u32_e64 v28, v28, s60                                // 000000007D08: D134001C 0000791C
	v_mul_i32_i24_e64 v29, s46, 16                             // 000000007D10: D106001D 0001202E
	v_add_u32_e32 v28, v28, v29                                // 000000007D18: 68383B1C
	v_cmp_lt_u32_e64 s[60:61], v28, s81                        // 000000007D1C: D0C9003C 0000A31C
	s_nop 1                                                    // 000000007D24: BF800001
	v_cndmask_b32_e64 v56, v151, v56, s[60:61]                 // 000000007D28: D1000038 00F27197
	v_cndmask_b32_e64 v57, v151, v57, s[60:61]                 // 000000007D30: D1000039 00F27397
	v_cndmask_b32_e64 v58, v151, v58, s[60:61]                 // 000000007D38: D100003A 00F27597
	v_cndmask_b32_e64 v59, v151, v59, s[60:61]                 // 000000007D40: D100003B 00F27797
	s_branch label_0FE7                                        // 000000007D48: BF820005

0000000000007d4c <label_0FE2>:
	v_mov_b32_e32 v56, v151                                    // 000000007D4C: 7E700397
	v_mov_b32_e32 v57, v151                                    // 000000007D50: 7E720397
	v_mov_b32_e32 v58, v151                                    // 000000007D54: 7E740397
	v_mov_b32_e32 v59, v151                                    // 000000007D58: 7E760397
	s_branch label_0FE7                                        // 000000007D5C: BF820000

0000000000007d60 <label_0FE7>:
	s_waitcnt lgkmcnt(8)                                       // 000000007D60: BF8CC87F
	s_barrier                                                  // 000000007D64: BF8A0000
	v_mfma_f32_16x16x16_bf16 v[72:75], v[92:93], a[96:97], 0   // 000000007D68: D3E10048 1202C15C
	v_fma_f32 v48, v48, s57, -v124                             // 000000007D70: D1CB0030 85F07330
	v_fma_f32 v49, v49, s57, -v125                             // 000000007D78: D1CB0031 85F47331
	v_fma_f32 v50, v50, s57, -v126                             // 000000007D80: D1CB0032 85F87332
	v_mfma_f32_16x16x16_bf16 v[72:75], v[94:95], a[98:99], v[72:75]// 000000007D88: D3E10048 1522C55E
	ds_read_b128 a[144:147], v12 offset:4352                   // 000000007D90: DBFE1100 9000000C
	ds_read_b128 a[148:151], v12 offset:4864                   // 000000007D98: DBFE1300 9400000C
	v_mfma_f32_16x16x16_bf16 v[72:75], v[96:97], a[100:101], v[72:75]// 000000007DA0: D3E10048 1522C960
	v_fma_f32 v51, v51, s57, -v127                             // 000000007DA8: D1CB0033 85FC7333
	v_fma_f32 v52, v52, s57, -v124                             // 000000007DB0: D1CB0034 85F07334
	v_fma_f32 v53, v53, s57, -v125                             // 000000007DB8: D1CB0035 85F47335
	v_mfma_f32_16x16x16_bf16 v[72:75], v[98:99], a[102:103], v[72:75]// 000000007DC0: D3E10048 1522CD62
	v_fma_f32 v54, v54, s57, -v126                             // 000000007DC8: D1CB0036 85F87336
	v_fma_f32 v55, v55, s57, -v127                             // 000000007DD0: D1CB0037 85FC7337
	v_fma_f32 v56, v56, s57, -v124                             // 000000007DD8: D1CB0038 85F07338
	v_mfma_f32_16x16x16_bf16 v[72:75], v[100:101], a[104:105], v[72:75]// 000000007DE0: D3E10048 1522D164
	v_fma_f32 v57, v57, s57, -v125                             // 000000007DE8: D1CB0039 85F47339
	v_fma_f32 v58, v58, s57, -v126                             // 000000007DF0: D1CB003A 85F8733A
	v_fma_f32 v59, v59, s57, -v127                             // 000000007DF8: D1CB003B 85FC733B
	v_mfma_f32_16x16x16_bf16 v[72:75], v[102:103], a[106:107], v[72:75]// 000000007E00: D3E10048 1522D566
	ds_read_b128 a[152:155], v12 offset:6528                   // 000000007E08: DBFE1980 9800000C
	ds_read_b128 a[156:159], v12 offset:7040                   // 000000007E10: DBFE1B80 9C00000C
	v_mfma_f32_16x16x16_bf16 v[72:75], v[104:105], a[108:109], v[72:75]// 000000007E18: D3E10048 1522D968
	v_exp_f32_e32 v48, v48                                     // 000000007E20: 7E604130
	v_mfma_f32_16x16x16_bf16 v[72:75], v[106:107], a[110:111], v[72:75]// 000000007E24: D3E10048 1522DD6A
	v_exp_f32_e32 v49, v49                                     // 000000007E2C: 7E624131
	v_mfma_f32_16x16x16_bf16 v[76:79], v[92:93], a[112:113], 0 // 000000007E30: D3E1004C 1202E15C
	v_exp_f32_e32 v50, v50                                     // 000000007E38: 7E644132
	v_mfma_f32_16x16x16_bf16 v[76:79], v[94:95], a[114:115], v[76:79]// 000000007E3C: D3E1004C 1532E55E
	ds_read_b64 v[136:137], v19 offset:24320                   // 000000007E44: D8EC5F00 88000013
	ds_read_b64 v[138:139], v19 offset:26368                   // 000000007E4C: D8EC6700 8A000013
	v_mfma_f32_16x16x16_bf16 v[76:79], v[96:97], a[116:117], v[76:79]// 000000007E54: D3E1004C 1532E960
	v_exp_f32_e32 v51, v51                                     // 000000007E5C: 7E664133
	v_mfma_f32_16x16x16_bf16 v[76:79], v[98:99], a[118:119], v[76:79]// 000000007E60: D3E1004C 1532ED62
	ds_read_b64 v[140:141], v19 offset:28416                   // 000000007E68: D8EC6F00 8C000013
	ds_read_b64 v[142:143], v19 offset:30464                   // 000000007E70: D8EC7700 8E000013
	v_mfma_f32_16x16x16_bf16 v[76:79], v[100:101], a[120:121], v[76:79]// 000000007E78: D3E1004C 1532F164
	v_exp_f32_e32 v52, v52                                     // 000000007E80: 7E684134
	v_mfma_f32_16x16x16_bf16 v[76:79], v[102:103], a[122:123], v[76:79]// 000000007E84: D3E1004C 1532F566
	v_exp_f32_e32 v53, v53                                     // 000000007E8C: 7E6A4135
	v_mfma_f32_16x16x16_bf16 v[76:79], v[104:105], a[124:125], v[76:79]// 000000007E90: D3E1004C 1532F968
	v_exp_f32_e32 v54, v54                                     // 000000007E98: 7E6C4136
	v_mfma_f32_16x16x16_bf16 v[76:79], v[106:107], a[126:127], v[76:79]// 000000007E9C: D3E1004C 1532FD6A
	v_exp_f32_e32 v55, v55                                     // 000000007EA4: 7E6E4137
	v_mfma_f32_16x16x16_bf16 v[80:83], v[92:93], a[128:129], 0 // 000000007EA8: D3E10050 1203015C
	v_exp_f32_e32 v56, v56                                     // 000000007EB0: 7E704138
	v_mfma_f32_16x16x16_bf16 v[80:83], v[94:95], a[130:131], v[80:83]// 000000007EB4: D3E10050 1543055E
	v_exp_f32_e32 v57, v57                                     // 000000007EBC: 7E724139
	v_mfma_f32_16x16x16_bf16 v[80:83], v[96:97], a[132:133], v[80:83]// 000000007EC0: D3E10050 15430960
	v_exp_f32_e32 v58, v58                                     // 000000007EC8: 7E74413A
	v_mfma_f32_16x16x16_bf16 v[80:83], v[98:99], a[134:135], v[80:83]// 000000007ECC: D3E10050 15430D62
	v_exp_f32_e32 v59, v59                                     // 000000007ED4: 7E76413B
	v_mfma_f32_16x16x16_bf16 v[80:83], v[100:101], a[136:137], v[80:83]// 000000007ED8: D3E10050 15431164
	v_perm_b32 v144, v49, v48, s64                             // 000000007EE0: D1ED0090 01026131
	v_perm_b32 v145, v51, v50, s64                             // 000000007EE8: D1ED0091 01026533
	v_perm_b32 v146, v53, v52, s64                             // 000000007EF0: D1ED0092 01026935
	v_mfma_f32_16x16x16_bf16 v[80:83], v[102:103], a[138:139], v[80:83]// 000000007EF8: D3E10050 15431566
	v_perm_b32 v147, v55, v54, s64                             // 000000007F00: D1ED0093 01026D37
	v_perm_b32 v148, v57, v56, s64                             // 000000007F08: D1ED0094 01027139
	v_perm_b32 v149, v59, v58, s64                             // 000000007F10: D1ED0095 0102753B
	v_mfma_f32_16x16x16_bf16 v[80:83], v[104:105], a[140:141], v[80:83]// 000000007F18: D3E10050 15431968
	v_add_u32_e32 v7, s66, v7                                  // 000000007F20: 680E0E42
	v_add_u32_e32 v8, s66, v8                                  // 000000007F24: 68101042
	v_mfma_f32_16x16x16_bf16 v[80:83], v[106:107], a[142:143], v[80:83]// 000000007F28: D3E10050 15431D6A
	s_waitcnt lgkmcnt(0)                                       // 000000007F30: BF8CC07F
	s_barrier                                                  // 000000007F34: BF8A0000
	v_mfma_f32_16x16x16_bf16 v[152:155], v[108:109], v[144:145], v[152:155]// 000000007F38: D3E10098 0663216C
	v_subrev_f32_dpp v72, v150, v72 quad_perm:[0,0,0,0] row_mask:0xf bank_mask:0xf// 000000007F40: 069090FA FF000096
	v_subrev_f32_dpp v73, v150, v73 quad_perm:[1,1,1,1] row_mask:0xf bank_mask:0xf// 000000007F48: 069292FA FF005596
	v_subrev_f32_dpp v74, v150, v74 quad_perm:[2,2,2,2] row_mask:0xf bank_mask:0xf// 000000007F50: 069494FA FF00AA96
	v_mfma_f32_16x16x16_bf16 v[156:159], v[110:111], v[144:145], v[156:159]// 000000007F58: D3E1009C 0673216E
	v_subrev_f32_dpp v75, v150, v75 quad_perm:[3,3,3,3] row_mask:0xf bank_mask:0xf// 000000007F60: 069696FA FF00FF96
	v_subrev_f32_dpp v76, v150, v76 quad_perm:[0,0,0,0] row_mask:0xf bank_mask:0xf// 000000007F68: 069898FA FF000096
	v_subrev_f32_dpp v77, v150, v77 quad_perm:[1,1,1,1] row_mask:0xf bank_mask:0xf// 000000007F70: 069A9AFA FF005596
	v_mfma_f32_16x16x16_bf16 v[160:163], v[112:113], v[144:145], v[160:163]// 000000007F78: D3E100A0 06832170
	v_mul_f32_e32 v72, v48, v72                                // 000000007F80: 0A909130
	v_mul_f32_e32 v73, v49, v73                                // 000000007F84: 0A929331
	v_mul_f32_e32 v74, v50, v74                                // 000000007F88: 0A949532
	v_mfma_f32_16x16x16_bf16 v[164:167], v[114:115], v[144:145], v[164:167]// 000000007F8C: D3E100A4 06932172
	v_mul_f32_e32 v75, v51, v75                                // 000000007F94: 0A969733
	v_mul_f32_e32 v76, v52, v76                                // 000000007F98: 0A989934
	v_mul_f32_e32 v77, v53, v77                                // 000000007F9C: 0A9A9B35
	v_mfma_f32_16x16x16_bf16 v[168:171], v[116:117], v[144:145], v[168:171]// 000000007FA0: D3E100A8 06A32174
	v_perm_b32 v72, v73, v72, s64                              // 000000007FA8: D1ED0048 01029149
	v_perm_b32 v73, v75, v74, s64                              // 000000007FB0: D1ED0049 0102954B
	v_perm_b32 v74, v77, v76, s64                              // 000000007FB8: D1ED004A 0102994D
	v_mfma_f32_16x16x16_bf16 v[172:175], v[118:119], v[144:145], v[172:175]// 000000007FC0: D3E100AC 06B32176
	v_mov_b32_dpp v16, v72 quad_perm:[1,0,3,2] row_mask:0xf bank_mask:0xf// 000000007FC8: 7E2002FA FF00B148
	v_perm_b32 v48, v16, v72, v15                              // 000000007FD0: D1ED0030 043E9110
	v_mov_b32_dpp v16, v73 quad_perm:[1,0,3,2] row_mask:0xf bank_mask:0xf// 000000007FD8: 7E2002FA FF00B149
	v_mfma_f32_16x16x16_bf16 v[176:179], v[120:121], v[144:145], v[176:179]// 000000007FE0: D3E100B0 06C32178
	ds_write_b32 v18, v48 offset:17408                         // 000000007FE8: D81A4400 00003012
	v_mfma_f32_16x16x16_bf16 v[180:183], v[122:123], v[144:145], v[180:183]// 000000007FF0: D3E100B4 06D3217A
	v_perm_b32 v49, v16, v73, v15                              // 000000007FF8: D1ED0031 043E9310
	v_mov_b32_dpp v16, v74 quad_perm:[1,0,3,2] row_mask:0xf bank_mask:0xf// 000000008000: 7E2002FA FF00B14A
	v_perm_b32 v50, v16, v74, v15                              // 000000008008: D1ED0032 043E9510
	v_mfma_f32_16x16x16_bf16 v[184:187], v[108:109], v[146:147], v[184:187]// 000000008010: D3E100B8 06E3256C
	ds_write_b32 v18, v49 offset:17952                         // 000000008018: D81A4620 00003112
	v_mfma_f32_16x16x16_bf16 v[188:191], v[110:111], v[146:147], v[188:191]// 000000008020: D3E100BC 06F3256E
	v_subrev_f32_dpp v78, v150, v78 quad_perm:[2,2,2,2] row_mask:0xf bank_mask:0xf// 000000008028: 069C9CFA FF00AA96
	v_subrev_f32_dpp v79, v150, v79 quad_perm:[3,3,3,3] row_mask:0xf bank_mask:0xf// 000000008030: 069E9EFA FF00FF96
	v_subrev_f32_dpp v80, v150, v80 quad_perm:[0,0,0,0] row_mask:0xf bank_mask:0xf// 000000008038: 06A0A0FA FF000096
	v_mfma_f32_16x16x16_bf16 v[192:195], v[112:113], v[146:147], v[192:195]// 000000008040: D3E100C0 07032570
	ds_write_b32 v18, v50 offset:19712                         // 000000008048: D81A4D00 00003212
	v_mfma_f32_16x16x16_bf16 v[196:199], v[114:115], v[146:147], v[196:199]// 000000008050: D3E100C4 07132572
	v_subrev_f32_dpp v81, v150, v81 quad_perm:[1,1,1,1] row_mask:0xf bank_mask:0xf// 000000008058: 06A2A2FA FF005596
	v_subrev_f32_dpp v82, v150, v82 quad_perm:[2,2,2,2] row_mask:0xf bank_mask:0xf// 000000008060: 06A4A4FA FF00AA96
	v_subrev_f32_dpp v83, v150, v83 quad_perm:[3,3,3,3] row_mask:0xf bank_mask:0xf// 000000008068: 06A6A6FA FF00FF96
	v_mfma_f32_16x16x16_bf16 v[200:203], v[116:117], v[146:147], v[200:203]// 000000008070: D3E100C8 07232574
	v_mul_f32_e32 v78, v54, v78                                // 000000008078: 0A9C9D36
	v_mul_f32_e32 v79, v55, v79                                // 00000000807C: 0A9E9F37
	v_mul_f32_e32 v80, v56, v80                                // 000000008080: 0AA0A138
	v_mfma_f32_16x16x16_bf16 v[204:207], v[118:119], v[146:147], v[204:207]// 000000008084: D3E100CC 07332576
	v_mul_f32_e32 v81, v57, v81                                // 00000000808C: 0AA2A339
	v_mul_f32_e32 v82, v58, v82                                // 000000008090: 0AA4A53A
	v_mul_f32_e32 v83, v59, v83                                // 000000008094: 0AA6A73B
	v_mfma_f32_16x16x16_bf16 v[208:211], v[120:121], v[146:147], v[208:211]// 000000008098: D3E100D0 07432578
	v_perm_b32 v75, v79, v78, s64                              // 0000000080A0: D1ED004B 01029D4F
	v_perm_b32 v76, v81, v80, s64                              // 0000000080A8: D1ED004C 0102A151
	v_perm_b32 v77, v83, v82, s64                              // 0000000080B0: D1ED004D 0102A553
	v_mfma_f32_16x16x16_bf16 v[212:215], v[122:123], v[146:147], v[212:215]// 0000000080B8: D3E100D4 0753257A
	v_mov_b32_dpp v16, v75 quad_perm:[1,0,3,2] row_mask:0xf bank_mask:0xf// 0000000080C0: 7E2002FA FF00B14B
	v_perm_b32 v51, v16, v75, v15                              // 0000000080C8: D1ED0033 043E9710
	v_mov_b32_dpp v16, v76 quad_perm:[1,0,3,2] row_mask:0xf bank_mask:0xf// 0000000080D0: 7E2002FA FF00B14C
	v_mfma_f32_16x16x16_bf16 v[216:219], v[108:109], v[148:149], v[216:219]// 0000000080D8: D3E100D8 0763296C
	ds_write_b32 v18, v51 offset:20256                         // 0000000080E0: D81A4F20 00003312
	v_mfma_f32_16x16x16_bf16 v[220:223], v[110:111], v[148:149], v[220:223]// 0000000080E8: D3E100DC 0773296E
	v_perm_b32 v52, v16, v76, v15                              // 0000000080F0: D1ED0034 043E9910
	v_mov_b32_dpp v16, v77 quad_perm:[1,0,3,2] row_mask:0xf bank_mask:0xf// 0000000080F8: 7E2002FA FF00B14D
	v_perm_b32 v53, v16, v77, v15                              // 000000008100: D1ED0035 043E9B10
	v_mfma_f32_16x16x16_bf16 v[224:227], v[112:113], v[148:149], v[224:227]// 000000008108: D3E100E0 07832970
	ds_write_b32 v18, v52 offset:22016                         // 000000008110: D81A5600 00003412
	ds_write_b32 v18, v53 offset:22560                         // 000000008118: D81A5820 00003512
	v_mfma_f32_16x16x16_bf16 v[228:231], v[114:115], v[148:149], v[228:231]// 000000008120: D3E100E4 07932972
	v_mfma_f32_16x16x16_bf16 v[232:235], v[116:117], v[148:149], v[232:235]// 000000008128: D3E100E8 07A32974
	ds_write_b32 v13, v84 offset:4352                          // 000000008130: D81A1100 0000540D
	ds_write_b32 v13, v85 offset:5408                          // 000000008138: D81A1520 0000550D
	v_mfma_f32_16x16x16_bf16 v[236:239], v[118:119], v[148:149], v[236:239]// 000000008140: D3E100EC 07B32976
	v_mfma_f32_16x16x16_bf16 v[240:243], v[120:121], v[148:149], v[240:243]// 000000008148: D3E100F0 07C32978
	ds_write_b32 v13, v86 offset:4480                          // 000000008150: D81A1180 0000560D
	ds_write_b32 v13, v87 offset:5536                          // 000000008158: D81A15A0 0000570D
	v_mfma_f32_16x16x16_bf16 v[244:247], v[122:123], v[148:149], v[244:247]// 000000008160: D3E100F4 07D3297A
	s_nop 0                                                    // 000000008168: BF800000
	s_nop 0                                                    // 00000000816C: BF800000
	s_nop 0                                                    // 000000008170: BF800000
	s_barrier                                                  // 000000008174: BF8A0000
	v_mfma_f32_16x16x16_bf16 a[160:163], a[144:145], v[72:73], a[160:163]// 000000008178: D3E180A0 0E829190
	ds_read_b32 v124, v21 offset:51200                         // 000000008180: D86CC800 7C000015
	ds_read_b32 v150, v21 offset:51456                         // 000000008188: D86CC900 96000015
	v_mfma_f32_16x16x16_bf16 a[164:167], a[146:147], v[72:73], a[164:167]// 000000008190: D3E180A4 0E929192
	buffer_atomic_add_f32 v136, v7, s[32:35], 0 offen          // 000000008198: E1341000 80088807
	v_mfma_f32_16x16x16_bf16 a[168:171], a[148:149], v[72:73], a[168:171]// 0000000081A0: D3E180A8 0EA29194
	s_waitcnt lgkmcnt(6)                                       // 0000000081A8: BF8CC67F
	s_barrier                                                  // 0000000081AC: BF8A0000
	v_mfma_f32_16x16x16_bf16 a[172:175], a[150:151], v[72:73], a[172:175]// 0000000081B0: D3E180AC 0EB29196
	v_mfma_f32_16x16x16_bf16 a[176:179], a[152:153], v[72:73], a[176:179]// 0000000081B8: D3E180B0 0EC29198
	ds_read_b128 v[48:51], v17 offset:17408                    // 0000000081C0: D9FE4400 30000011
	v_mfma_f32_16x16x16_bf16 a[180:183], a[154:155], v[72:73], a[180:183]// 0000000081C8: D3E180B4 0ED2919A
	v_mfma_f32_16x16x16_bf16 a[184:187], a[156:157], v[72:73], a[184:187]// 0000000081D0: D3E180B8 0EE2919C
	ds_read_b128 v[52:55], v17 offset:18560                    // 0000000081D8: D9FE4880 34000011
	v_mfma_f32_16x16x16_bf16 a[188:191], a[158:159], v[72:73], a[188:191]// 0000000081E0: D3E180BC 0EF2919E
	buffer_atomic_add_f32 v137, v8, s[32:35], 0 offen          // 0000000081E8: E1341000 80088908
	v_mfma_f32_16x16x16_bf16 a[192:195], a[144:145], v[74:75], a[192:195]// 0000000081F0: D3E180C0 0F029590
	ds_read_b128 v[56:59], v17 offset:19712                    // 0000000081F8: D9FE4D00 38000011
	v_mfma_f32_16x16x16_bf16 a[196:199], a[146:147], v[74:75], a[196:199]// 000000008200: D3E180C4 0F129592
	v_mfma_f32_16x16x16_bf16 a[200:203], a[148:149], v[74:75], a[200:203]// 000000008208: D3E180C8 0F229594
	ds_read_b128 v[60:63], v17 offset:20864                    // 000000008210: D9FE5180 3C000011
	v_mfma_f32_16x16x16_bf16 a[204:207], a[150:151], v[74:75], a[204:207]// 000000008218: D3E180CC 0F329596
	v_mfma_f32_16x16x16_bf16 a[208:211], a[152:153], v[74:75], a[208:211]// 000000008220: D3E180D0 0F429598
	ds_read_b128 v[64:67], v17 offset:22016                    // 000000008228: D9FE5600 40000011
	v_mfma_f32_16x16x16_bf16 a[212:215], a[154:155], v[74:75], a[212:215]// 000000008230: D3E180D4 0F52959A
	buffer_atomic_add_f32 v138, v7, s[32:35], 0 offen offset:128// 000000008238: E1341080 80088A07
	v_mfma_f32_16x16x16_bf16 a[216:219], a[156:157], v[74:75], a[216:219]// 000000008240: D3E180D8 0F62959C
	ds_read_b128 v[68:71], v17 offset:23168                    // 000000008248: D9FE5A80 44000011
	v_mfma_f32_16x16x16_bf16 a[220:223], a[158:159], v[74:75], a[220:223]// 000000008250: D3E180DC 0F72959E
	v_mfma_f32_16x16x16_bf16 a[224:227], a[144:145], v[76:77], a[224:227]// 000000008258: D3E180E0 0F829990
	ds_write_b32 v13, v88 offset:13056                         // 000000008260: D81A3300 0000580D
	v_mfma_f32_16x16x16_bf16 a[228:231], a[146:147], v[76:77], a[228:231]// 000000008268: D3E180E4 0F929992
	v_mfma_f32_16x16x16_bf16 a[232:235], a[148:149], v[76:77], a[232:235]// 000000008270: D3E180E8 0FA29994
	ds_write_b32 v13, v89 offset:14112                         // 000000008278: D81A3720 0000590D
	v_mfma_f32_16x16x16_bf16 a[236:239], a[150:151], v[76:77], a[236:239]// 000000008280: D3E180EC 0FB29996
	buffer_atomic_add_f32 v139, v8, s[32:35], 0 offen offset:128// 000000008288: E1341080 80088B08
	v_mfma_f32_16x16x16_bf16 a[240:243], a[152:153], v[76:77], a[240:243]// 000000008290: D3E180F0 0FC29998
	ds_write_b32 v13, v90 offset:13184                         // 000000008298: D81A3380 00005A0D
	v_mfma_f32_16x16x16_bf16 a[244:247], a[154:155], v[76:77], a[244:247]// 0000000082A0: D3E180F4 0FD2999A
	v_mfma_f32_16x16x16_bf16 a[248:251], a[156:157], v[76:77], a[248:251]// 0000000082A8: D3E180F8 0FE2999C
	ds_write_b32 v13, v91 offset:14240                         // 0000000082B0: D81A37A0 00005B0D
	v_mfma_f32_16x16x16_bf16 a[252:255], a[158:159], v[76:77], a[252:255]// 0000000082B8: D3E180FC 0FF2999E
	s_waitcnt vmcnt(8) lgkmcnt(4)                              // 0000000082C0: BF8C0478
	s_barrier                                                  // 0000000082C4: BF8A0000
	v_mfma_f32_16x16x16_bf16 v[128:131], v[48:49], a[48:49], 0 // 0000000082C8: D3E10080 12026130
	ds_read_b128 a[144:147], v10                               // 0000000082D0: DBFE0000 9000000A
	v_mov_b32_e32 v36, 0                                       // 0000000082D8: 7E480280
	s_mov_b64 exec, s[78:79]                                   // 0000000082DC: BEFE014E
	buffer_load_dword v36, v1, s[8:11], 0 idxen                // 0000000082E0: E0502000 80022401
	s_mov_b64 exec, s[84:85]                                   // 0000000082E8: BEFE0154
	v_mfma_f32_16x16x16_bf16 v[128:131], v[50:51], a[52:53], v[128:131]// 0000000082EC: D3E10080 16026932
	v_mul_f32_e32 v124, s48, v124                              // 0000000082F4: 0AF8F830
	s_nop 0                                                    // 0000000082F8: BF800000
	v_mfma_f32_16x16x16_bf16 v[128:131], v[52:53], a[56:57], v[128:131]// 0000000082FC: D3E10080 16027134
	ds_read_b128 a[148:151], v10 offset:512                    // 000000008304: DBFE0200 9400000A
	v_mov_b32_e32 v37, 0                                       // 00000000830C: 7E4A0280
	s_mov_b64 exec, s[78:79]                                   // 000000008310: BEFE014E
	buffer_load_dword v37, v2, s[8:11], 0 idxen                // 000000008314: E0502000 80022502
	s_mov_b64 exec, s[84:85]                                   // 00000000831C: BEFE0154
	v_mfma_f32_16x16x16_bf16 v[128:131], v[54:55], a[60:61], v[128:131]// 000000008320: D3E10080 16027936
	v_mfma_f32_16x16x16_bf16 v[128:131], v[56:57], a[64:65], v[128:131]// 000000008328: D3E10080 16028138
	ds_read_b128 a[152:155], v10 offset:2176                   // 000000008330: DBFE0880 9800000A
	v_mov_b32_e32 v38, 0                                       // 000000008338: 7E4C0280
	s_mov_b64 exec, s[78:79]                                   // 00000000833C: BEFE014E
	buffer_load_dword v38, v3, s[8:11], 0 idxen                // 000000008340: E0502000 80022603
	s_mov_b64 exec, s[84:85]                                   // 000000008348: BEFE0154
	v_mfma_f32_16x16x16_bf16 v[128:131], v[58:59], a[68:69], v[128:131]// 00000000834C: D3E10080 1602893A
	v_perm_b32 v84, v33, v32, s63                              // 000000008354: D1ED0054 00FE4121
	v_perm_b32 v85, v33, v32, s64                              // 00000000835C: D1ED0055 01024121
	v_mfma_f32_16x16x16_bf16 v[128:131], v[60:61], a[72:73], v[128:131]// 000000008364: D3E10080 1602913C
	ds_read_b128 a[156:159], v10 offset:2688                   // 00000000836C: DBFE0A80 9C00000A
	v_mov_b32_e32 v39, 0                                       // 000000008374: 7E4E0280
	s_mov_b64 exec, s[78:79]                                   // 000000008378: BEFE014E
	buffer_load_dword v39, v4, s[8:11], 0 idxen                // 00000000837C: E0502000 80022704
	s_mov_b64 exec, s[84:85]                                   // 000000008384: BEFE0154
	v_mfma_f32_16x16x16_bf16 v[128:131], v[62:63], a[76:77], v[128:131]// 000000008388: D3E10080 1602993E
	v_perm_b32 v86, v35, v34, s63                              // 000000008390: D1ED0056 00FE4523
	v_perm_b32 v87, v35, v34, s64                              // 000000008398: D1ED0057 01024523
	v_mfma_f32_16x16x16_bf16 v[128:131], v[64:65], a[80:81], v[128:131]// 0000000083A0: D3E10080 1602A140
	ds_read_b128 v[92:95], v10 offset:8704                     // 0000000083A8: D9FE2200 5C00000A
	v_mov_b32_e32 v44, 0                                       // 0000000083B0: 7E580280
	s_mov_b64 exec, s[78:79]                                   // 0000000083B4: BEFE014E
	buffer_load_dword v44, v252, s[20:23], 0 idxen             // 0000000083B8: E0502000 80052CFC
	s_mov_b64 exec, s[84:85]                                   // 0000000083C0: BEFE0154
	v_mfma_f32_16x16x16_bf16 v[128:131], v[66:67], a[84:85], v[128:131]// 0000000083C4: D3E10080 1602A942
	v_perm_b32 v88, v41, v40, s63                              // 0000000083CC: D1ED0058 00FE5129
	v_perm_b32 v89, v41, v40, s64                              // 0000000083D4: D1ED0059 01025129
	v_mfma_f32_16x16x16_bf16 v[128:131], v[68:69], a[88:89], v[128:131]// 0000000083DC: D3E10080 1602B144
	ds_read_b128 v[96:99], v10 offset:9216                     // 0000000083E4: D9FE2400 6000000A
	v_mov_b32_e32 v45, 0                                       // 0000000083EC: 7E5A0280
	s_mov_b64 exec, s[78:79]                                   // 0000000083F0: BEFE014E
	buffer_load_dword v45, v253, s[20:23], 0 idxen             // 0000000083F4: E0502000 80052DFD
	s_mov_b64 exec, s[84:85]                                   // 0000000083FC: BEFE0154
	v_mfma_f32_16x16x16_bf16 v[128:131], v[70:71], a[92:93], v[128:131]// 000000008400: D3E10080 1602B946
	v_perm_b32 v90, v43, v42, s63                              // 000000008408: D1ED005A 00FE552B
	v_perm_b32 v91, v43, v42, s64                              // 000000008410: D1ED005B 0102552B
	v_mfma_f32_16x16x16_bf16 v[132:135], v[48:49], a[50:51], 0 // 000000008418: D3E10084 12026530
	ds_read_b128 v[100:103], v10 offset:10880                  // 000000008420: D9FE2A80 6400000A
	v_mov_b32_e32 v46, 0                                       // 000000008428: 7E5C0280
	s_mov_b64 exec, s[78:79]                                   // 00000000842C: BEFE014E
	buffer_load_dword v46, v254, s[20:23], 0 idxen             // 000000008430: E0502000 80052EFE
	s_mov_b64 exec, s[84:85]                                   // 000000008438: BEFE0154
	v_mfma_f32_16x16x16_bf16 v[132:135], v[50:51], a[54:55], v[132:135]// 00000000843C: D3E10084 16126D32
	v_mov_b32_dpp v127, v124 quad_perm:[3,3,3,3] row_mask:0xf bank_mask:0xf// 000000008444: 7EFE02FA FF00FF7C
	v_mov_b32_dpp v126, v124 quad_perm:[2,2,2,2] row_mask:0xf bank_mask:0xf// 00000000844C: 7EFC02FA FF00AA7C
	v_mfma_f32_16x16x16_bf16 v[132:135], v[52:53], a[58:59], v[132:135]// 000000008454: D3E10084 16127534
	ds_read_b128 v[104:107], v10 offset:11392                  // 00000000845C: D9FE2C80 6800000A
	v_mov_b32_e32 v47, 0                                       // 000000008464: 7E5E0280
	s_mov_b64 exec, s[78:79]                                   // 000000008468: BEFE014E
	buffer_load_dword v47, v255, s[20:23], 0 idxen             // 00000000846C: E0502000 80052FFF
	s_mov_b64 exec, s[84:85]                                   // 000000008474: BEFE0154
	v_mfma_f32_16x16x16_bf16 v[132:135], v[54:55], a[62:63], v[132:135]// 000000008478: D3E10084 16127D36
	v_mov_b32_dpp v125, v124 quad_perm:[1,1,1,1] row_mask:0xf bank_mask:0xf// 000000008480: 7EFA02FA FF00557C
	v_mov_b32_dpp v124, v124 quad_perm:[0,0,0,0] row_mask:0xf bank_mask:0xf// 000000008488: 7EF802FA FF00007C
	s_add_u32 s60, 64, s59                                     // 000000008490: 803C3BC0
	v_mfma_f32_16x16x16_bf16 v[132:135], v[56:57], a[66:67], v[132:135]// 000000008494: D3E10084 16128538
	buffer_load_dword v9, s[24:27], 0 idxen lds                // 00000000849C: E0512000 80060009
	v_mfma_f32_16x16x16_bf16 v[132:135], v[58:59], a[70:71], v[132:135]// 0000000084A4: D3E10084 16128D3A
	s_cmp_lt_u32 s60, s58                                      // 0000000084AC: BF0A3A3C
	s_cselect_b32 s68, s68, 0                                  // 0000000084B0: 85448044
	s_cselect_b32 s101, s101, 0                                // 0000000084B4: 85658065
	s_cselect_b32 s69, s69, 0                                  // 0000000084B8: 85458045
	v_mfma_f32_16x16x16_bf16 v[132:135], v[60:61], a[74:75], v[132:135]// 0000000084BC: D3E10084 1612953C
	v_add_u32_e32 v1, s68, v1                                  // 0000000084C4: 68020244
	v_add_u32_e32 v2, s68, v2                                  // 0000000084C8: 68040444
	v_add_u32_e32 v3, s68, v3                                  // 0000000084CC: 68060644
	v_add_u32_e32 v4, s68, v4                                  // 0000000084D0: 68080844
	v_mfma_f32_16x16x16_bf16 v[132:135], v[62:63], a[78:79], v[132:135]// 0000000084D4: D3E10084 16129D3E
	v_add_u32_e32 v252, s101, v252                             // 0000000084DC: 69F9F865
	v_add_u32_e32 v253, s101, v253                             // 0000000084E0: 69FBFA65
	v_add_u32_e32 v254, s101, v254                             // 0000000084E4: 69FDFC65
	v_add_u32_e32 v255, s101, v255                             // 0000000084E8: 69FFFE65
	v_mfma_f32_16x16x16_bf16 v[132:135], v[64:65], a[82:83], v[132:135]// 0000000084EC: D3E10084 1612A540
	s_mov_b32 m0, s76                                          // 0000000084F4: BEFC004C
	v_add_u32_e32 v9, s69, v9                                  // 0000000084F8: 68121245
	v_mfma_f32_16x16x16_bf16 v[132:135], v[66:67], a[86:87], v[132:135]// 0000000084FC: D3E10084 1612AD42
	s_cmp_ge_u32 s59, 16                                       // 000000008504: BF09903B
	s_cselect_b32 s66, s67, s66                                // 000000008508: 85424243
	v_mfma_f32_16x16x16_bf16 v[132:135], v[68:69], a[90:91], v[132:135]// 00000000850C: D3E10084 1612B544
	s_addk_i32 s59, 0x10                                       // 000000008514: B73B0010
	s_nop 0                                                    // 000000008518: BF800000
	s_cmp_lt_i32 s59, s58                                      // 00000000851C: BF043A3B
	v_mfma_f32_16x16x16_bf16 v[132:135], v[70:71], a[94:95], v[132:135]// 000000008520: D3E10084 1612BD46
	s_cbranch_scc0 label_0F2D                                  // 000000008528: BF84FD58
	s_waitcnt lgkmcnt(0)                                       // 00000000852C: BF8CC07F
	s_barrier                                                  // 000000008530: BF8A0000
	v_mfma_f32_16x16x16_bf16 v[48:51], a[144:145], a[0:1], 0   // 000000008534: D3E10030 1A020190
	v_mul_f32_e32 v128, s47, v128                              // 00000000853C: 0B01002F
	v_mul_f32_e32 v129, s47, v129                              // 000000008540: 0B03022F
	v_mfma_f32_16x16x16_bf16 v[48:51], a[146:147], a[2:3], v[48:51]// 000000008544: D3E10030 1CC20592
	ds_write_b32 v11, v40 offset:8704                          // 00000000854C: D81A2200 0000280B
	ds_write_b32 v11, v41 offset:9760                          // 000000008554: D81A2620 0000290B
	v_mfma_f32_16x16x16_bf16 v[48:51], a[148:149], a[4:5], v[48:51]// 00000000855C: D3E10030 1CC20994
	v_mul_f32_e32 v130, s47, v130                              // 000000008564: 0B05042F
	v_mul_f32_e32 v131, s47, v131                              // 000000008568: 0B07062F
	v_mfma_f32_16x16x16_bf16 v[48:51], a[150:151], a[6:7], v[48:51]// 00000000856C: D3E10030 1CC20D96
	ds_write_b32 v11, v42 offset:8832                          // 000000008574: D81A2280 00002A0B
	ds_write_b32 v11, v43 offset:9888                          // 00000000857C: D81A26A0 00002B0B
	v_mfma_f32_16x16x16_bf16 v[48:51], a[152:153], a[8:9], v[48:51]// 000000008584: D3E10030 1CC21198
	v_mul_f32_e32 v132, s47, v132                              // 00000000858C: 0B09082F
	v_mul_f32_e32 v133, s47, v133                              // 000000008590: 0B0B0A2F
	v_mfma_f32_16x16x16_bf16 v[48:51], a[154:155], a[10:11], v[48:51]// 000000008594: D3E10030 1CC2159A
	ds_write_b64 v20, v[128:129] offset:24320                  // 00000000859C: D89A5F00 00008014
	v_mfma_f32_16x16x16_bf16 v[48:51], a[156:157], a[12:13], v[48:51]// 0000000085A4: D3E10030 1CC2199C
	v_mul_f32_e32 v134, s47, v134                              // 0000000085AC: 0B0D0C2F
	v_mul_f32_e32 v135, s47, v135                              // 0000000085B0: 0B0F0E2F
	v_mfma_f32_16x16x16_bf16 v[48:51], a[158:159], a[14:15], v[48:51]// 0000000085B4: D3E10030 1CC21D9E
	ds_write_b64 v20, v[130:131] offset:24832                  // 0000000085BC: D89A6100 00008214
	v_mfma_f32_16x16x16_bf16 v[52:55], a[144:145], a[16:17], 0 // 0000000085C4: D3E10034 1A022190
	buffer_atomic_add_f32 v140, v7, s[32:35], 0 offen offset:256// 0000000085CC: E1341100 80088C07
	v_mfma_f32_16x16x16_bf16 v[52:55], a[146:147], a[18:19], v[52:55]// 0000000085D4: D3E10034 1CD22592
	ds_write_b64 v20, v[132:133] offset:25344                  // 0000000085DC: D89A6300 00008414
	v_mfma_f32_16x16x16_bf16 v[52:55], a[148:149], a[20:21], v[52:55]// 0000000085E4: D3E10034 1CD22994
	v_mfma_f32_16x16x16_bf16 v[52:55], a[150:151], a[22:23], v[52:55]// 0000000085EC: D3E10034 1CD22D96
	ds_write_b64 v20, v[134:135] offset:25856                  // 0000000085F4: D89A6500 00008614
	v_mfma_f32_16x16x16_bf16 v[52:55], a[152:153], a[24:25], v[52:55]// 0000000085FC: D3E10034 1CD23198
	buffer_atomic_add_f32 v141, v8, s[32:35], 0 offen offset:256// 000000008604: E1341100 80088D08
	v_mfma_f32_16x16x16_bf16 v[52:55], a[154:155], a[26:27], v[52:55]// 00000000860C: D3E10034 1CD2359A
	ds_read_b128 v[108:111], v12 offset:13056                  // 000000008614: D9FE3300 6C00000C
	ds_write_b32 v11, v32                                      // 00000000861C: D81A0000 0000200B
	v_mfma_f32_16x16x16_bf16 v[52:55], a[156:157], a[28:29], v[52:55]// 000000008624: D3E10034 1CD2399C
	v_mfma_f32_16x16x16_bf16 v[52:55], a[158:159], a[30:31], v[52:55]// 00000000862C: D3E10034 1CD23D9E
	v_mfma_f32_16x16x16_bf16 v[56:59], a[144:145], a[32:33], 0 // 000000008634: D3E10038 1A024190
	ds_read_b128 v[112:115], v12 offset:13568                  // 00000000863C: D9FE3500 7000000C
	ds_write_b32 v11, v33 offset:1056                          // 000000008644: D81A0420 0000210B
	v_mfma_f32_16x16x16_bf16 v[56:59], a[146:147], a[34:35], v[56:59]// 00000000864C: D3E10038 1CE24592
	buffer_atomic_add_f32 v142, v7, s[32:35], 0 offen offset:384// 000000008654: E1341180 80088E07
	v_mfma_f32_16x16x16_bf16 v[56:59], a[148:149], a[36:37], v[56:59]// 00000000865C: D3E10038 1CE24994
	v_mfma_f32_16x16x16_bf16 v[56:59], a[150:151], a[38:39], v[56:59]// 000000008664: D3E10038 1CE24D96
	ds_read_b128 v[116:119], v12 offset:15232                  // 00000000866C: D9FE3B80 7400000C
	ds_write_b32 v11, v34 offset:128                           // 000000008674: D81A0080 0000220B
	v_mfma_f32_16x16x16_bf16 v[56:59], a[152:153], a[40:41], v[56:59]// 00000000867C: D3E10038 1CE25198
	v_mfma_f32_16x16x16_bf16 v[56:59], a[154:155], a[42:43], v[56:59]// 000000008684: D3E10038 1CE2559A
	buffer_atomic_add_f32 v143, v8, s[32:35], 0 offen offset:384// 00000000868C: E1341180 80088F08
	v_mfma_f32_16x16x16_bf16 v[56:59], a[156:157], a[44:45], v[56:59]// 000000008694: D3E10038 1CE2599C
	ds_read_b128 v[120:123], v12 offset:15744                  // 00000000869C: D9FE3D80 7800000C
	ds_write_b32 v11, v35 offset:1184                          // 0000000086A4: D81A04A0 0000230B
	v_mfma_f32_16x16x16_bf16 v[56:59], a[158:159], a[46:47], v[56:59]// 0000000086AC: D3E10038 1CE25D9E
	s_cmp_lt_i32 s81, 0xc0                                     // 0000000086B4: BF04FF51 000000C0
	s_cbranch_scc0 label_1291                                  // 0000000086BC: BF84004D
	s_cmp_le_i32 s81, 64                                       // 0000000086C0: BF05C051
	s_cbranch_scc1 label_1248                                  // 0000000086C4: BF850007
	s_cmp_le_i32 s81, 0x80                                     // 0000000086C8: BF05FF51 00000080
	s_cbranch_scc1 label_1260                                  // 0000000086D0: BF850017
	s_cmp_lt_i32 s81, 0xc0                                     // 0000000086D4: BF04FF51 000000C0
	s_cbranch_scc1 label_1278                                  // 0000000086DC: BF85002C
	s_branch label_1291                                        // 0000000086E0: BF820044

00000000000086e4 <label_1248>:
	s_mov_b32 s60, 0                                           // 0000000086E4: BEBC0080
	v_and_b32_e32 v28, 15, v0                                  // 0000000086E8: 2638008F
	v_add_u32_e64 v28, v28, s60                                // 0000000086EC: D134001C 0000791C
	v_mul_i32_i24_e64 v29, s46, 16                             // 0000000086F4: D106001D 0001202E
	v_add_u32_e32 v28, v28, v29                                // 0000000086FC: 68383B1C
	v_cmp_lt_u32_e64 s[60:61], v28, s81                        // 000000008700: D0C9003C 0000A31C
	s_nop 1                                                    // 000000008708: BF800001
	v_cndmask_b32_e64 v48, v151, v48, s[60:61]                 // 00000000870C: D1000030 00F26197
	v_cndmask_b32_e64 v49, v151, v49, s[60:61]                 // 000000008714: D1000031 00F26397
	v_cndmask_b32_e64 v50, v151, v50, s[60:61]                 // 00000000871C: D1000032 00F26597
	v_cndmask_b32_e64 v51, v151, v51, s[60:61]                 // 000000008724: D1000033 00F26797
	s_branch label_1273                                        // 00000000872C: BF820013

0000000000008730 <label_1260>:
	s_mov_b32 s60, 64                                          // 000000008730: BEBC00C0
	v_and_b32_e32 v28, 15, v0                                  // 000000008734: 2638008F
	v_add_u32_e64 v28, v28, s60                                // 000000008738: D134001C 0000791C
	v_mul_i32_i24_e64 v29, s46, 16                             // 000000008740: D106001D 0001202E
	v_add_u32_e32 v28, v28, v29                                // 000000008748: 68383B1C
	v_cmp_lt_u32_e64 s[60:61], v28, s81                        // 00000000874C: D0C9003C 0000A31C
	s_nop 1                                                    // 000000008754: BF800001
	v_cndmask_b32_e64 v52, v151, v52, s[60:61]                 // 000000008758: D1000034 00F26997
	v_cndmask_b32_e64 v53, v151, v53, s[60:61]                 // 000000008760: D1000035 00F26B97
	v_cndmask_b32_e64 v54, v151, v54, s[60:61]                 // 000000008768: D1000036 00F26D97
	v_cndmask_b32_e64 v55, v151, v55, s[60:61]                 // 000000008770: D1000037 00F26F97
	s_branch label_128C                                        // 000000008778: BF820019

000000000000877c <label_1273>:
	v_mov_b32_e32 v52, v151                                    // 00000000877C: 7E680397
	v_mov_b32_e32 v53, v151                                    // 000000008780: 7E6A0397
	v_mov_b32_e32 v54, v151                                    // 000000008784: 7E6C0397
	v_mov_b32_e32 v55, v151                                    // 000000008788: 7E6E0397
	s_branch label_128C                                        // 00000000878C: BF820014

0000000000008790 <label_1278>:
	s_mov_b32 s60, 0x80                                        // 000000008790: BEBC00FF 00000080
	v_and_b32_e32 v28, 15, v0                                  // 000000008798: 2638008F
	v_add_u32_e64 v28, v28, s60                                // 00000000879C: D134001C 0000791C
	v_mul_i32_i24_e64 v29, s46, 16                             // 0000000087A4: D106001D 0001202E
	v_add_u32_e32 v28, v28, v29                                // 0000000087AC: 68383B1C
	v_cmp_lt_u32_e64 s[60:61], v28, s81                        // 0000000087B0: D0C9003C 0000A31C
	s_nop 1                                                    // 0000000087B8: BF800001
	v_cndmask_b32_e64 v56, v151, v56, s[60:61]                 // 0000000087BC: D1000038 00F27197
	v_cndmask_b32_e64 v57, v151, v57, s[60:61]                 // 0000000087C4: D1000039 00F27397
	v_cndmask_b32_e64 v58, v151, v58, s[60:61]                 // 0000000087CC: D100003A 00F27597
	v_cndmask_b32_e64 v59, v151, v59, s[60:61]                 // 0000000087D4: D100003B 00F27797
	s_branch label_1291                                        // 0000000087DC: BF820005

00000000000087e0 <label_128C>:
	v_mov_b32_e32 v56, v151                                    // 0000000087E0: 7E700397
	v_mov_b32_e32 v57, v151                                    // 0000000087E4: 7E720397
	v_mov_b32_e32 v58, v151                                    // 0000000087E8: 7E740397
	v_mov_b32_e32 v59, v151                                    // 0000000087EC: 7E760397
	s_branch label_1291                                        // 0000000087F0: BF820000

00000000000087f4 <label_1291>:
	s_waitcnt lgkmcnt(8)                                       // 0000000087F4: BF8CC87F
	s_barrier                                                  // 0000000087F8: BF8A0000
	v_mfma_f32_16x16x16_bf16 v[72:75], v[92:93], a[96:97], 0   // 0000000087FC: D3E10048 1202C15C
	v_fma_f32 v48, v48, s57, -v124                             // 000000008804: D1CB0030 85F07330
	v_fma_f32 v49, v49, s57, -v125                             // 00000000880C: D1CB0031 85F47331
	v_fma_f32 v50, v50, s57, -v126                             // 000000008814: D1CB0032 85F87332
	v_mfma_f32_16x16x16_bf16 v[72:75], v[94:95], a[98:99], v[72:75]// 00000000881C: D3E10048 1522C55E
	ds_read_b128 a[144:147], v12 offset:4352                   // 000000008824: DBFE1100 9000000C
	ds_read_b128 a[148:151], v12 offset:4864                   // 00000000882C: DBFE1300 9400000C
	v_mfma_f32_16x16x16_bf16 v[72:75], v[96:97], a[100:101], v[72:75]// 000000008834: D3E10048 1522C960
	v_fma_f32 v51, v51, s57, -v127                             // 00000000883C: D1CB0033 85FC7333
	v_fma_f32 v52, v52, s57, -v124                             // 000000008844: D1CB0034 85F07334
	v_fma_f32 v53, v53, s57, -v125                             // 00000000884C: D1CB0035 85F47335
	v_mfma_f32_16x16x16_bf16 v[72:75], v[98:99], a[102:103], v[72:75]// 000000008854: D3E10048 1522CD62
	v_fma_f32 v54, v54, s57, -v126                             // 00000000885C: D1CB0036 85F87336
	v_fma_f32 v55, v55, s57, -v127                             // 000000008864: D1CB0037 85FC7337
	v_fma_f32 v56, v56, s57, -v124                             // 00000000886C: D1CB0038 85F07338
	v_mfma_f32_16x16x16_bf16 v[72:75], v[100:101], a[104:105], v[72:75]// 000000008874: D3E10048 1522D164
	v_fma_f32 v57, v57, s57, -v125                             // 00000000887C: D1CB0039 85F47339
	v_fma_f32 v58, v58, s57, -v126                             // 000000008884: D1CB003A 85F8733A
	v_fma_f32 v59, v59, s57, -v127                             // 00000000888C: D1CB003B 85FC733B
	v_mfma_f32_16x16x16_bf16 v[72:75], v[102:103], a[106:107], v[72:75]// 000000008894: D3E10048 1522D566
	ds_read_b128 a[152:155], v12 offset:6528                   // 00000000889C: DBFE1980 9800000C
	ds_read_b128 a[156:159], v12 offset:7040                   // 0000000088A4: DBFE1B80 9C00000C
	v_mfma_f32_16x16x16_bf16 v[72:75], v[104:105], a[108:109], v[72:75]// 0000000088AC: D3E10048 1522D968
	v_exp_f32_e32 v48, v48                                     // 0000000088B4: 7E604130
	v_mfma_f32_16x16x16_bf16 v[72:75], v[106:107], a[110:111], v[72:75]// 0000000088B8: D3E10048 1522DD6A
	v_exp_f32_e32 v49, v49                                     // 0000000088C0: 7E624131
	v_mfma_f32_16x16x16_bf16 v[76:79], v[92:93], a[112:113], 0 // 0000000088C4: D3E1004C 1202E15C
	v_exp_f32_e32 v50, v50                                     // 0000000088CC: 7E644132
	v_mfma_f32_16x16x16_bf16 v[76:79], v[94:95], a[114:115], v[76:79]// 0000000088D0: D3E1004C 1532E55E
	ds_read_b64 v[136:137], v19 offset:24320                   // 0000000088D8: D8EC5F00 88000013
	ds_read_b64 v[138:139], v19 offset:26368                   // 0000000088E0: D8EC6700 8A000013
	v_mfma_f32_16x16x16_bf16 v[76:79], v[96:97], a[116:117], v[76:79]// 0000000088E8: D3E1004C 1532E960
	v_exp_f32_e32 v51, v51                                     // 0000000088F0: 7E664133
	v_mfma_f32_16x16x16_bf16 v[76:79], v[98:99], a[118:119], v[76:79]// 0000000088F4: D3E1004C 1532ED62
	ds_read_b64 v[140:141], v19 offset:28416                   // 0000000088FC: D8EC6F00 8C000013
	ds_read_b64 v[142:143], v19 offset:30464                   // 000000008904: D8EC7700 8E000013
	v_mfma_f32_16x16x16_bf16 v[76:79], v[100:101], a[120:121], v[76:79]// 00000000890C: D3E1004C 1532F164
	v_exp_f32_e32 v52, v52                                     // 000000008914: 7E684134
	v_mfma_f32_16x16x16_bf16 v[76:79], v[102:103], a[122:123], v[76:79]// 000000008918: D3E1004C 1532F566
	v_exp_f32_e32 v53, v53                                     // 000000008920: 7E6A4135
	v_mfma_f32_16x16x16_bf16 v[76:79], v[104:105], a[124:125], v[76:79]// 000000008924: D3E1004C 1532F968
	v_exp_f32_e32 v54, v54                                     // 00000000892C: 7E6C4136
	v_mfma_f32_16x16x16_bf16 v[76:79], v[106:107], a[126:127], v[76:79]// 000000008930: D3E1004C 1532FD6A
	v_exp_f32_e32 v55, v55                                     // 000000008938: 7E6E4137
	v_mfma_f32_16x16x16_bf16 v[80:83], v[92:93], a[128:129], 0 // 00000000893C: D3E10050 1203015C
	v_exp_f32_e32 v56, v56                                     // 000000008944: 7E704138
	v_mfma_f32_16x16x16_bf16 v[80:83], v[94:95], a[130:131], v[80:83]// 000000008948: D3E10050 1543055E
	v_exp_f32_e32 v57, v57                                     // 000000008950: 7E724139
	v_mfma_f32_16x16x16_bf16 v[80:83], v[96:97], a[132:133], v[80:83]// 000000008954: D3E10050 15430960
	v_exp_f32_e32 v58, v58                                     // 00000000895C: 7E74413A
	v_mfma_f32_16x16x16_bf16 v[80:83], v[98:99], a[134:135], v[80:83]// 000000008960: D3E10050 15430D62
	v_exp_f32_e32 v59, v59                                     // 000000008968: 7E76413B
	v_mfma_f32_16x16x16_bf16 v[80:83], v[100:101], a[136:137], v[80:83]// 00000000896C: D3E10050 15431164
	v_perm_b32 v144, v49, v48, s64                             // 000000008974: D1ED0090 01026131
	v_perm_b32 v145, v51, v50, s64                             // 00000000897C: D1ED0091 01026533
	v_perm_b32 v146, v53, v52, s64                             // 000000008984: D1ED0092 01026935
	v_mfma_f32_16x16x16_bf16 v[80:83], v[102:103], a[138:139], v[80:83]// 00000000898C: D3E10050 15431566
	v_perm_b32 v147, v55, v54, s64                             // 000000008994: D1ED0093 01026D37
	v_perm_b32 v148, v57, v56, s64                             // 00000000899C: D1ED0094 01027139
	v_perm_b32 v149, v59, v58, s64                             // 0000000089A4: D1ED0095 0102753B
	v_mfma_f32_16x16x16_bf16 v[80:83], v[104:105], a[140:141], v[80:83]// 0000000089AC: D3E10050 15431968
	v_add_u32_e32 v7, s66, v7                                  // 0000000089B4: 680E0E42
	v_add_u32_e32 v8, s66, v8                                  // 0000000089B8: 68101042
	v_mfma_f32_16x16x16_bf16 v[80:83], v[106:107], a[142:143], v[80:83]// 0000000089BC: D3E10050 15431D6A
	s_waitcnt lgkmcnt(0)                                       // 0000000089C4: BF8CC07F
	s_barrier                                                  // 0000000089C8: BF8A0000
	v_mfma_f32_16x16x16_bf16 v[152:155], v[108:109], v[144:145], v[152:155]// 0000000089CC: D3E10098 0663216C
	v_subrev_f32_dpp v72, v150, v72 quad_perm:[0,0,0,0] row_mask:0xf bank_mask:0xf// 0000000089D4: 069090FA FF000096
	v_subrev_f32_dpp v73, v150, v73 quad_perm:[1,1,1,1] row_mask:0xf bank_mask:0xf// 0000000089DC: 069292FA FF005596
	v_subrev_f32_dpp v74, v150, v74 quad_perm:[2,2,2,2] row_mask:0xf bank_mask:0xf// 0000000089E4: 069494FA FF00AA96
	v_mfma_f32_16x16x16_bf16 v[156:159], v[110:111], v[144:145], v[156:159]// 0000000089EC: D3E1009C 0673216E
	v_subrev_f32_dpp v75, v150, v75 quad_perm:[3,3,3,3] row_mask:0xf bank_mask:0xf// 0000000089F4: 069696FA FF00FF96
	v_subrev_f32_dpp v76, v150, v76 quad_perm:[0,0,0,0] row_mask:0xf bank_mask:0xf// 0000000089FC: 069898FA FF000096
	v_subrev_f32_dpp v77, v150, v77 quad_perm:[1,1,1,1] row_mask:0xf bank_mask:0xf// 000000008A04: 069A9AFA FF005596
	v_mfma_f32_16x16x16_bf16 v[160:163], v[112:113], v[144:145], v[160:163]// 000000008A0C: D3E100A0 06832170
	v_mul_f32_e32 v72, v48, v72                                // 000000008A14: 0A909130
	v_mul_f32_e32 v73, v49, v73                                // 000000008A18: 0A929331
	v_mul_f32_e32 v74, v50, v74                                // 000000008A1C: 0A949532
	v_mfma_f32_16x16x16_bf16 v[164:167], v[114:115], v[144:145], v[164:167]// 000000008A20: D3E100A4 06932172
	v_mul_f32_e32 v75, v51, v75                                // 000000008A28: 0A969733
	v_mul_f32_e32 v76, v52, v76                                // 000000008A2C: 0A989934
	v_mul_f32_e32 v77, v53, v77                                // 000000008A30: 0A9A9B35
	v_mfma_f32_16x16x16_bf16 v[168:171], v[116:117], v[144:145], v[168:171]// 000000008A34: D3E100A8 06A32174
	v_perm_b32 v72, v73, v72, s64                              // 000000008A3C: D1ED0048 01029149
	v_perm_b32 v73, v75, v74, s64                              // 000000008A44: D1ED0049 0102954B
	v_perm_b32 v74, v77, v76, s64                              // 000000008A4C: D1ED004A 0102994D
	v_mfma_f32_16x16x16_bf16 v[172:175], v[118:119], v[144:145], v[172:175]// 000000008A54: D3E100AC 06B32176
	v_mov_b32_dpp v16, v72 quad_perm:[1,0,3,2] row_mask:0xf bank_mask:0xf// 000000008A5C: 7E2002FA FF00B148
	v_perm_b32 v48, v16, v72, v15                              // 000000008A64: D1ED0030 043E9110
	v_mov_b32_dpp v16, v73 quad_perm:[1,0,3,2] row_mask:0xf bank_mask:0xf// 000000008A6C: 7E2002FA FF00B149
	v_mfma_f32_16x16x16_bf16 v[176:179], v[120:121], v[144:145], v[176:179]// 000000008A74: D3E100B0 06C32178
	ds_write_b32 v18, v48 offset:17408                         // 000000008A7C: D81A4400 00003012
	v_mfma_f32_16x16x16_bf16 v[180:183], v[122:123], v[144:145], v[180:183]// 000000008A84: D3E100B4 06D3217A
	v_perm_b32 v49, v16, v73, v15                              // 000000008A8C: D1ED0031 043E9310
	v_mov_b32_dpp v16, v74 quad_perm:[1,0,3,2] row_mask:0xf bank_mask:0xf// 000000008A94: 7E2002FA FF00B14A
	v_perm_b32 v50, v16, v74, v15                              // 000000008A9C: D1ED0032 043E9510
	v_mfma_f32_16x16x16_bf16 v[184:187], v[108:109], v[146:147], v[184:187]// 000000008AA4: D3E100B8 06E3256C
	ds_write_b32 v18, v49 offset:17952                         // 000000008AAC: D81A4620 00003112
	v_mfma_f32_16x16x16_bf16 v[188:191], v[110:111], v[146:147], v[188:191]// 000000008AB4: D3E100BC 06F3256E
	v_subrev_f32_dpp v78, v150, v78 quad_perm:[2,2,2,2] row_mask:0xf bank_mask:0xf// 000000008ABC: 069C9CFA FF00AA96
	v_subrev_f32_dpp v79, v150, v79 quad_perm:[3,3,3,3] row_mask:0xf bank_mask:0xf// 000000008AC4: 069E9EFA FF00FF96
	v_subrev_f32_dpp v80, v150, v80 quad_perm:[0,0,0,0] row_mask:0xf bank_mask:0xf// 000000008ACC: 06A0A0FA FF000096
	v_mfma_f32_16x16x16_bf16 v[192:195], v[112:113], v[146:147], v[192:195]// 000000008AD4: D3E100C0 07032570
	ds_write_b32 v18, v50 offset:19712                         // 000000008ADC: D81A4D00 00003212
	v_mfma_f32_16x16x16_bf16 v[196:199], v[114:115], v[146:147], v[196:199]// 000000008AE4: D3E100C4 07132572
	v_subrev_f32_dpp v81, v150, v81 quad_perm:[1,1,1,1] row_mask:0xf bank_mask:0xf// 000000008AEC: 06A2A2FA FF005596
	v_subrev_f32_dpp v82, v150, v82 quad_perm:[2,2,2,2] row_mask:0xf bank_mask:0xf// 000000008AF4: 06A4A4FA FF00AA96
	v_subrev_f32_dpp v83, v150, v83 quad_perm:[3,3,3,3] row_mask:0xf bank_mask:0xf// 000000008AFC: 06A6A6FA FF00FF96
	v_mfma_f32_16x16x16_bf16 v[200:203], v[116:117], v[146:147], v[200:203]// 000000008B04: D3E100C8 07232574
	v_mul_f32_e32 v78, v54, v78                                // 000000008B0C: 0A9C9D36
	v_mul_f32_e32 v79, v55, v79                                // 000000008B10: 0A9E9F37
	v_mul_f32_e32 v80, v56, v80                                // 000000008B14: 0AA0A138
	v_mfma_f32_16x16x16_bf16 v[204:207], v[118:119], v[146:147], v[204:207]// 000000008B18: D3E100CC 07332576
	v_mul_f32_e32 v81, v57, v81                                // 000000008B20: 0AA2A339
	v_mul_f32_e32 v82, v58, v82                                // 000000008B24: 0AA4A53A
	v_mul_f32_e32 v83, v59, v83                                // 000000008B28: 0AA6A73B
	v_mfma_f32_16x16x16_bf16 v[208:211], v[120:121], v[146:147], v[208:211]// 000000008B2C: D3E100D0 07432578
	v_perm_b32 v75, v79, v78, s64                              // 000000008B34: D1ED004B 01029D4F
	v_perm_b32 v76, v81, v80, s64                              // 000000008B3C: D1ED004C 0102A151
	v_perm_b32 v77, v83, v82, s64                              // 000000008B44: D1ED004D 0102A553
	v_mfma_f32_16x16x16_bf16 v[212:215], v[122:123], v[146:147], v[212:215]// 000000008B4C: D3E100D4 0753257A
	v_mov_b32_dpp v16, v75 quad_perm:[1,0,3,2] row_mask:0xf bank_mask:0xf// 000000008B54: 7E2002FA FF00B14B
	v_perm_b32 v51, v16, v75, v15                              // 000000008B5C: D1ED0033 043E9710
	v_mov_b32_dpp v16, v76 quad_perm:[1,0,3,2] row_mask:0xf bank_mask:0xf// 000000008B64: 7E2002FA FF00B14C
	v_mfma_f32_16x16x16_bf16 v[216:219], v[108:109], v[148:149], v[216:219]// 000000008B6C: D3E100D8 0763296C
	ds_write_b32 v18, v51 offset:20256                         // 000000008B74: D81A4F20 00003312
	v_mfma_f32_16x16x16_bf16 v[220:223], v[110:111], v[148:149], v[220:223]// 000000008B7C: D3E100DC 0773296E
	v_perm_b32 v52, v16, v76, v15                              // 000000008B84: D1ED0034 043E9910
	v_mov_b32_dpp v16, v77 quad_perm:[1,0,3,2] row_mask:0xf bank_mask:0xf// 000000008B8C: 7E2002FA FF00B14D
	v_perm_b32 v53, v16, v77, v15                              // 000000008B94: D1ED0035 043E9B10
	v_mfma_f32_16x16x16_bf16 v[224:227], v[112:113], v[148:149], v[224:227]// 000000008B9C: D3E100E0 07832970
	ds_write_b32 v18, v52 offset:22016                         // 000000008BA4: D81A5600 00003412
	ds_write_b32 v18, v53 offset:22560                         // 000000008BAC: D81A5820 00003512
	v_mfma_f32_16x16x16_bf16 v[228:231], v[114:115], v[148:149], v[228:231]// 000000008BB4: D3E100E4 07932972
	v_mfma_f32_16x16x16_bf16 v[232:235], v[116:117], v[148:149], v[232:235]// 000000008BBC: D3E100E8 07A32974
	ds_write_b32 v13, v84 offset:4352                          // 000000008BC4: D81A1100 0000540D
	ds_write_b32 v13, v85 offset:5408                          // 000000008BCC: D81A1520 0000550D
	v_mfma_f32_16x16x16_bf16 v[236:239], v[118:119], v[148:149], v[236:239]// 000000008BD4: D3E100EC 07B32976
	v_mfma_f32_16x16x16_bf16 v[240:243], v[120:121], v[148:149], v[240:243]// 000000008BDC: D3E100F0 07C32978
	ds_write_b32 v13, v86 offset:4480                          // 000000008BE4: D81A1180 0000560D
	ds_write_b32 v13, v87 offset:5536                          // 000000008BEC: D81A15A0 0000570D
	v_mfma_f32_16x16x16_bf16 v[244:247], v[122:123], v[148:149], v[244:247]// 000000008BF4: D3E100F4 07D3297A
	s_nop 0                                                    // 000000008BFC: BF800000
	s_nop 0                                                    // 000000008C00: BF800000
	s_nop 0                                                    // 000000008C04: BF800000
	s_barrier                                                  // 000000008C08: BF8A0000
	v_mfma_f32_16x16x16_bf16 a[160:163], a[144:145], v[72:73], a[160:163]// 000000008C0C: D3E180A0 0E829190
	ds_read_b32 v124, v21 offset:50688                         // 000000008C14: D86CC600 7C000015
	ds_read_b32 v150, v21 offset:50944                         // 000000008C1C: D86CC700 96000015
	v_mfma_f32_16x16x16_bf16 a[164:167], a[146:147], v[72:73], a[164:167]// 000000008C24: D3E180A4 0E929192
	buffer_atomic_add_f32 v136, v7, s[32:35], 0 offen          // 000000008C2C: E1341000 80088807
	v_mfma_f32_16x16x16_bf16 a[168:171], a[148:149], v[72:73], a[168:171]// 000000008C34: D3E180A8 0EA29194
	s_waitcnt lgkmcnt(6)                                       // 000000008C3C: BF8CC67F
	s_barrier                                                  // 000000008C40: BF8A0000
	v_mfma_f32_16x16x16_bf16 a[172:175], a[150:151], v[72:73], a[172:175]// 000000008C44: D3E180AC 0EB29196
	v_mfma_f32_16x16x16_bf16 a[176:179], a[152:153], v[72:73], a[176:179]// 000000008C4C: D3E180B0 0EC29198
	ds_read_b128 v[48:51], v17 offset:17408                    // 000000008C54: D9FE4400 30000011
	v_mfma_f32_16x16x16_bf16 a[180:183], a[154:155], v[72:73], a[180:183]// 000000008C5C: D3E180B4 0ED2919A
	v_mfma_f32_16x16x16_bf16 a[184:187], a[156:157], v[72:73], a[184:187]// 000000008C64: D3E180B8 0EE2919C
	ds_read_b128 v[52:55], v17 offset:18560                    // 000000008C6C: D9FE4880 34000011
	v_mfma_f32_16x16x16_bf16 a[188:191], a[158:159], v[72:73], a[188:191]// 000000008C74: D3E180BC 0EF2919E
	buffer_atomic_add_f32 v137, v8, s[32:35], 0 offen          // 000000008C7C: E1341000 80088908
	v_mfma_f32_16x16x16_bf16 a[192:195], a[144:145], v[74:75], a[192:195]// 000000008C84: D3E180C0 0F029590
	ds_read_b128 v[56:59], v17 offset:19712                    // 000000008C8C: D9FE4D00 38000011
	v_mfma_f32_16x16x16_bf16 a[196:199], a[146:147], v[74:75], a[196:199]// 000000008C94: D3E180C4 0F129592
	v_mfma_f32_16x16x16_bf16 a[200:203], a[148:149], v[74:75], a[200:203]// 000000008C9C: D3E180C8 0F229594
	ds_read_b128 v[60:63], v17 offset:20864                    // 000000008CA4: D9FE5180 3C000011
	v_mfma_f32_16x16x16_bf16 a[204:207], a[150:151], v[74:75], a[204:207]// 000000008CAC: D3E180CC 0F329596
	v_mfma_f32_16x16x16_bf16 a[208:211], a[152:153], v[74:75], a[208:211]// 000000008CB4: D3E180D0 0F429598
	ds_read_b128 v[64:67], v17 offset:22016                    // 000000008CBC: D9FE5600 40000011
	v_mfma_f32_16x16x16_bf16 a[212:215], a[154:155], v[74:75], a[212:215]// 000000008CC4: D3E180D4 0F52959A
	buffer_atomic_add_f32 v138, v7, s[32:35], 0 offen offset:128// 000000008CCC: E1341080 80088A07
	v_mfma_f32_16x16x16_bf16 a[216:219], a[156:157], v[74:75], a[216:219]// 000000008CD4: D3E180D8 0F62959C
	ds_read_b128 v[68:71], v17 offset:23168                    // 000000008CDC: D9FE5A80 44000011
	v_mfma_f32_16x16x16_bf16 a[220:223], a[158:159], v[74:75], a[220:223]// 000000008CE4: D3E180DC 0F72959E
	v_mfma_f32_16x16x16_bf16 a[224:227], a[144:145], v[76:77], a[224:227]// 000000008CEC: D3E180E0 0F829990
	ds_write_b32 v13, v88 offset:13056                         // 000000008CF4: D81A3300 0000580D
	v_mfma_f32_16x16x16_bf16 a[228:231], a[146:147], v[76:77], a[228:231]// 000000008CFC: D3E180E4 0F929992
	v_mfma_f32_16x16x16_bf16 a[232:235], a[148:149], v[76:77], a[232:235]// 000000008D04: D3E180E8 0FA29994
	ds_write_b32 v13, v89 offset:14112                         // 000000008D0C: D81A3720 0000590D
	v_mfma_f32_16x16x16_bf16 a[236:239], a[150:151], v[76:77], a[236:239]// 000000008D14: D3E180EC 0FB29996
	buffer_atomic_add_f32 v139, v8, s[32:35], 0 offen offset:128// 000000008D1C: E1341080 80088B08
	v_mfma_f32_16x16x16_bf16 a[240:243], a[152:153], v[76:77], a[240:243]// 000000008D24: D3E180F0 0FC29998
	ds_write_b32 v13, v90 offset:13184                         // 000000008D2C: D81A3380 00005A0D
	v_mfma_f32_16x16x16_bf16 a[244:247], a[154:155], v[76:77], a[244:247]// 000000008D34: D3E180F4 0FD2999A
	v_mfma_f32_16x16x16_bf16 a[248:251], a[156:157], v[76:77], a[248:251]// 000000008D3C: D3E180F8 0FE2999C
	ds_write_b32 v13, v91 offset:14240                         // 000000008D44: D81A37A0 00005B0D
	v_mfma_f32_16x16x16_bf16 a[252:255], a[158:159], v[76:77], a[252:255]// 000000008D4C: D3E180FC 0FF2999E
	s_waitcnt vmcnt(8) lgkmcnt(4)                              // 000000008D54: BF8C0478
	s_barrier                                                  // 000000008D58: BF8A0000
	v_mfma_f32_16x16x16_bf16 v[128:131], v[48:49], a[48:49], 0 // 000000008D5C: D3E10080 12026130
	ds_read_b128 a[144:147], v10                               // 000000008D64: DBFE0000 9000000A
	v_mov_b32_e32 v32, 0                                       // 000000008D6C: 7E400280
	s_mov_b64 exec, s[78:79]                                   // 000000008D70: BEFE014E
	buffer_load_dword v32, v1, s[8:11], 0 idxen                // 000000008D74: E0502000 80022001
	s_mov_b64 exec, s[84:85]                                   // 000000008D7C: BEFE0154
	v_mfma_f32_16x16x16_bf16 v[128:131], v[50:51], a[52:53], v[128:131]// 000000008D80: D3E10080 16026932
	v_mul_f32_e32 v124, s48, v124                              // 000000008D88: 0AF8F830
	s_nop 0                                                    // 000000008D8C: BF800000
	v_mfma_f32_16x16x16_bf16 v[128:131], v[52:53], a[56:57], v[128:131]// 000000008D90: D3E10080 16027134
	ds_read_b128 a[148:151], v10 offset:512                    // 000000008D98: DBFE0200 9400000A
	v_mov_b32_e32 v33, 0                                       // 000000008DA0: 7E420280
	s_mov_b64 exec, s[78:79]                                   // 000000008DA4: BEFE014E
	buffer_load_dword v33, v2, s[8:11], 0 idxen                // 000000008DA8: E0502000 80022102
	s_mov_b64 exec, s[84:85]                                   // 000000008DB0: BEFE0154
	v_mfma_f32_16x16x16_bf16 v[128:131], v[54:55], a[60:61], v[128:131]// 000000008DB4: D3E10080 16027936
	v_mfma_f32_16x16x16_bf16 v[128:131], v[56:57], a[64:65], v[128:131]// 000000008DBC: D3E10080 16028138
	ds_read_b128 a[152:155], v10 offset:2176                   // 000000008DC4: DBFE0880 9800000A
	v_mov_b32_e32 v34, 0                                       // 000000008DCC: 7E440280
	s_mov_b64 exec, s[78:79]                                   // 000000008DD0: BEFE014E
	buffer_load_dword v34, v3, s[8:11], 0 idxen                // 000000008DD4: E0502000 80022203
	s_mov_b64 exec, s[84:85]                                   // 000000008DDC: BEFE0154
	v_mfma_f32_16x16x16_bf16 v[128:131], v[58:59], a[68:69], v[128:131]// 000000008DE0: D3E10080 1602893A
	v_perm_b32 v84, v37, v36, s63                              // 000000008DE8: D1ED0054 00FE4925
	v_perm_b32 v85, v37, v36, s64                              // 000000008DF0: D1ED0055 01024925
	v_mfma_f32_16x16x16_bf16 v[128:131], v[60:61], a[72:73], v[128:131]// 000000008DF8: D3E10080 1602913C
	ds_read_b128 a[156:159], v10 offset:2688                   // 000000008E00: DBFE0A80 9C00000A
	v_mov_b32_e32 v35, 0                                       // 000000008E08: 7E460280
	s_mov_b64 exec, s[78:79]                                   // 000000008E0C: BEFE014E
	buffer_load_dword v35, v4, s[8:11], 0 idxen                // 000000008E10: E0502000 80022304
	s_mov_b64 exec, s[84:85]                                   // 000000008E18: BEFE0154
	v_mfma_f32_16x16x16_bf16 v[128:131], v[62:63], a[76:77], v[128:131]// 000000008E1C: D3E10080 1602993E
	v_perm_b32 v86, v39, v38, s63                              // 000000008E24: D1ED0056 00FE4D27
	v_perm_b32 v87, v39, v38, s64                              // 000000008E2C: D1ED0057 01024D27
	v_mfma_f32_16x16x16_bf16 v[128:131], v[64:65], a[80:81], v[128:131]// 000000008E34: D3E10080 1602A140
	ds_read_b128 v[92:95], v10 offset:8704                     // 000000008E3C: D9FE2200 5C00000A
	v_mov_b32_e32 v40, 0                                       // 000000008E44: 7E500280
	s_mov_b64 exec, s[78:79]                                   // 000000008E48: BEFE014E
	buffer_load_dword v40, v252, s[20:23], 0 idxen             // 000000008E4C: E0502000 800528FC
	s_mov_b64 exec, s[84:85]                                   // 000000008E54: BEFE0154
	v_mfma_f32_16x16x16_bf16 v[128:131], v[66:67], a[84:85], v[128:131]// 000000008E58: D3E10080 1602A942
	v_perm_b32 v88, v45, v44, s63                              // 000000008E60: D1ED0058 00FE592D
	v_perm_b32 v89, v45, v44, s64                              // 000000008E68: D1ED0059 0102592D
	v_mfma_f32_16x16x16_bf16 v[128:131], v[68:69], a[88:89], v[128:131]// 000000008E70: D3E10080 1602B144
	ds_read_b128 v[96:99], v10 offset:9216                     // 000000008E78: D9FE2400 6000000A
	v_mov_b32_e32 v41, 0                                       // 000000008E80: 7E520280
	s_mov_b64 exec, s[78:79]                                   // 000000008E84: BEFE014E
	buffer_load_dword v41, v253, s[20:23], 0 idxen             // 000000008E88: E0502000 800529FD
	s_mov_b64 exec, s[84:85]                                   // 000000008E90: BEFE0154
	v_mfma_f32_16x16x16_bf16 v[128:131], v[70:71], a[92:93], v[128:131]// 000000008E94: D3E10080 1602B946
	v_perm_b32 v90, v47, v46, s63                              // 000000008E9C: D1ED005A 00FE5D2F
	v_perm_b32 v91, v47, v46, s64                              // 000000008EA4: D1ED005B 01025D2F
	v_mfma_f32_16x16x16_bf16 v[132:135], v[48:49], a[50:51], 0 // 000000008EAC: D3E10084 12026530
	ds_read_b128 v[100:103], v10 offset:10880                  // 000000008EB4: D9FE2A80 6400000A
	v_mov_b32_e32 v42, 0                                       // 000000008EBC: 7E540280
	s_mov_b64 exec, s[78:79]                                   // 000000008EC0: BEFE014E
	buffer_load_dword v42, v254, s[20:23], 0 idxen             // 000000008EC4: E0502000 80052AFE
	s_mov_b64 exec, s[84:85]                                   // 000000008ECC: BEFE0154
	v_mfma_f32_16x16x16_bf16 v[132:135], v[50:51], a[54:55], v[132:135]// 000000008ED0: D3E10084 16126D32
	v_mov_b32_dpp v127, v124 quad_perm:[3,3,3,3] row_mask:0xf bank_mask:0xf// 000000008ED8: 7EFE02FA FF00FF7C
	v_mov_b32_dpp v126, v124 quad_perm:[2,2,2,2] row_mask:0xf bank_mask:0xf// 000000008EE0: 7EFC02FA FF00AA7C
	v_mfma_f32_16x16x16_bf16 v[132:135], v[52:53], a[58:59], v[132:135]// 000000008EE8: D3E10084 16127534
	ds_read_b128 v[104:107], v10 offset:11392                  // 000000008EF0: D9FE2C80 6800000A
	v_mov_b32_e32 v43, 0                                       // 000000008EF8: 7E560280
	s_mov_b64 exec, s[78:79]                                   // 000000008EFC: BEFE014E
	buffer_load_dword v43, v255, s[20:23], 0 idxen             // 000000008F00: E0502000 80052BFF
	s_mov_b64 exec, s[84:85]                                   // 000000008F08: BEFE0154
	v_mfma_f32_16x16x16_bf16 v[132:135], v[54:55], a[62:63], v[132:135]// 000000008F0C: D3E10084 16127D36
	v_mov_b32_dpp v125, v124 quad_perm:[1,1,1,1] row_mask:0xf bank_mask:0xf// 000000008F14: 7EFA02FA FF00557C
	v_mov_b32_dpp v124, v124 quad_perm:[0,0,0,0] row_mask:0xf bank_mask:0xf// 000000008F1C: 7EF802FA FF00007C
	s_add_u32 s60, 64, s59                                     // 000000008F24: 803C3BC0
	v_mfma_f32_16x16x16_bf16 v[132:135], v[56:57], a[66:67], v[132:135]// 000000008F28: D3E10084 16128538
	buffer_load_dword v9, s[24:27], 0 idxen lds                // 000000008F30: E0512000 80060009
	v_mfma_f32_16x16x16_bf16 v[132:135], v[58:59], a[70:71], v[132:135]// 000000008F38: D3E10084 16128D3A
	s_cmp_lt_u32 s60, s58                                      // 000000008F40: BF0A3A3C
	s_cselect_b32 s68, s68, 0                                  // 000000008F44: 85448044
	s_cselect_b32 s101, s101, 0                                // 000000008F48: 85658065
	s_cselect_b32 s69, s69, 0                                  // 000000008F4C: 85458045
	v_mfma_f32_16x16x16_bf16 v[132:135], v[60:61], a[74:75], v[132:135]// 000000008F50: D3E10084 1612953C
	v_add_u32_e32 v1, s68, v1                                  // 000000008F58: 68020244
	v_add_u32_e32 v2, s68, v2                                  // 000000008F5C: 68040444
	v_add_u32_e32 v3, s68, v3                                  // 000000008F60: 68060644
	v_add_u32_e32 v4, s68, v4                                  // 000000008F64: 68080844
	v_mfma_f32_16x16x16_bf16 v[132:135], v[62:63], a[78:79], v[132:135]// 000000008F68: D3E10084 16129D3E
	v_add_u32_e32 v252, s101, v252                             // 000000008F70: 69F9F865
	v_add_u32_e32 v253, s101, v253                             // 000000008F74: 69FBFA65
	v_add_u32_e32 v254, s101, v254                             // 000000008F78: 69FDFC65
	v_add_u32_e32 v255, s101, v255                             // 000000008F7C: 69FFFE65
	v_mfma_f32_16x16x16_bf16 v[132:135], v[64:65], a[82:83], v[132:135]// 000000008F80: D3E10084 1612A540
	s_mov_b32 m0, s77                                          // 000000008F88: BEFC004D
	v_add_u32_e32 v9, s69, v9                                  // 000000008F8C: 68121245
	v_mfma_f32_16x16x16_bf16 v[132:135], v[66:67], a[86:87], v[132:135]// 000000008F90: D3E10084 1612AD42
	s_cmp_ge_u32 s59, 16                                       // 000000008F98: BF09903B
	s_cselect_b32 s66, s67, s66                                // 000000008F9C: 85424243
	v_mfma_f32_16x16x16_bf16 v[132:135], v[68:69], a[90:91], v[132:135]// 000000008FA0: D3E10084 1612B544
	s_addk_i32 s59, 0x10                                       // 000000008FA8: B73B0010
	s_nop 0                                                    // 000000008FAC: BF800000
	s_cmp_lt_i32 s59, s58                                      // 000000008FB0: BF043A3B
	v_mfma_f32_16x16x16_bf16 v[132:135], v[70:71], a[94:95], v[132:135]// 000000008FB4: D3E10084 1612BD46
	s_cbranch_scc0 label_0F2D                                  // 000000008FBC: BF84FAB3
	s_branch label_0F30                                        // 000000008FC0: BF82FAB5

0000000000008fc4 <label_1485>:
	buffer_atomic_add_f32 v140, v7, s[32:35], 0 offen offset:256// 000000008FC4: E1341100 80088C07
	buffer_atomic_add_f32 v141, v8, s[32:35], 0 offen offset:256// 000000008FCC: E1341100 80088D08
	buffer_atomic_add_f32 v142, v7, s[32:35], 0 offen offset:384// 000000008FD4: E1341180 80088E07
	buffer_atomic_add_f32 v143, v8, s[32:35], 0 offen offset:384// 000000008FDC: E1341180 80088F08
	v_add_u32_e32 v7, s66, v7                                  // 000000008FE4: 680E0E42
	v_add_u32_e32 v8, s66, v8                                  // 000000008FE8: 68101042
	v_lshrrev_b32_e32 v28, 5, v0                               // 000000008FEC: 20380085
	v_mul_i32_i24_e32 v25, 0x42, v28                           // 000000008FF0: 0C3238FF 00000042
	v_and_b32_e32 v28, 31, v0                                  // 000000008FF8: 2638009F
	v_mul_i32_i24_e32 v29, 2, v28                              // 000000008FFC: 0C3A3882
	v_add_u32_e32 v25, v29, v25                                // 000000009000: 6832331D
	s_mul_i32 s60, s46, 0x420                                  // 000000009004: 923CFF2E 00000420
	v_add_u32_e32 v25, s60, v25                                // 00000000900C: 6832323C
	v_lshlrev_b32_e32 v25, 2, v25                              // 000000009010: 24323282
	v_mul_f32_e32 v128, s47, v128                              // 000000009014: 0B01002F
	v_mul_f32_e32 v129, s47, v129                              // 000000009018: 0B03022F
	v_mul_f32_e32 v130, s47, v130                              // 00000000901C: 0B05042F
	v_mul_f32_e32 v131, s47, v131                              // 000000009020: 0B07062F
	v_mul_f32_e32 v132, s47, v132                              // 000000009024: 0B09082F
	v_mul_f32_e32 v133, s47, v133                              // 000000009028: 0B0B0A2F
	v_mul_f32_e32 v134, s47, v134                              // 00000000902C: 0B0D0C2F
	v_mul_f32_e32 v135, s47, v135                              // 000000009030: 0B0F0E2F
	ds_write_b64 v20, v[128:129] offset:24320                  // 000000009034: D89A5F00 00008014
	ds_write_b64 v20, v[130:131] offset:24832                  // 00000000903C: D89A6100 00008214
	ds_write_b64 v20, v[132:133] offset:25344                  // 000000009044: D89A6300 00008414
	ds_write_b64 v20, v[134:135] offset:25856                  // 00000000904C: D89A6500 00008614
	s_waitcnt lgkmcnt(0)                                       // 000000009054: BF8CC07F
	s_barrier                                                  // 000000009058: BF8A0000
	ds_read_b64 v[136:137], v19 offset:24320                   // 00000000905C: D8EC5F00 88000013
	ds_read_b64 v[138:139], v19 offset:26368                   // 000000009064: D8EC6700 8A000013
	ds_read_b64 v[140:141], v19 offset:28416                   // 00000000906C: D8EC6F00 8C000013
	ds_read_b64 v[142:143], v19 offset:30464                   // 000000009074: D8EC7700 8E000013
	s_waitcnt lgkmcnt(0)                                       // 00000000907C: BF8CC07F
	s_barrier                                                  // 000000009080: BF8A0000
	buffer_atomic_add_f32 v136, v7, s[32:35], 0 offen          // 000000009084: E1341000 80088807
	buffer_atomic_add_f32 v137, v8, s[32:35], 0 offen          // 00000000908C: E1341000 80088908
	buffer_atomic_add_f32 v138, v7, s[32:35], 0 offen offset:128// 000000009094: E1341080 80088A07
	buffer_atomic_add_f32 v139, v8, s[32:35], 0 offen offset:128// 00000000909C: E1341080 80088B08
	buffer_atomic_add_f32 v140, v7, s[32:35], 0 offen offset:256// 0000000090A4: E1341100 80088C07
	buffer_atomic_add_f32 v141, v8, s[32:35], 0 offen offset:256// 0000000090AC: E1341100 80088D08
	buffer_atomic_add_f32 v142, v7, s[32:35], 0 offen offset:384// 0000000090B4: E1341180 80088E07
	buffer_atomic_add_f32 v143, v8, s[32:35], 0 offen offset:384// 0000000090BC: E1341180 80088F08
	v_lshrrev_b32_e32 v28, 4, v0                               // 0000000090C4: 20380084
	v_mul_i32_i24_e32 v24, 2, v28                              // 0000000090C8: 0C303882
	v_and_b32_e32 v28, 15, v0                                  // 0000000090CC: 2638008F
	v_mul_i32_i24_e32 v29, 0x42, v28                           // 0000000090D0: 0C3A38FF 00000042
	v_add_u32_e32 v24, v29, v24                                // 0000000090D8: 6830311D
	s_mul_i32 s60, s46, 0x420                                  // 0000000090DC: 923CFF2E 00000420
	v_add_u32_e32 v24, s60, v24                                // 0000000090E4: 6830303C
	v_lshlrev_b32_e32 v24, 2, v24                              // 0000000090E8: 24303082
	v_accvgpr_read_b32 v30, a160                               // 0000000090EC: D3D8401E 180001A0
	v_accvgpr_read_b32 v31, a161                               // 0000000090F4: D3D8401F 180001A1
	v_mul_f32_e32 v30, s47, v30                                // 0000000090FC: 0A3C3C2F
	v_mul_f32_e32 v31, s47, v31                                // 000000009100: 0A3E3E2F
	v_cmp_u_f32_e64 s[74:75], v30, v30                         // 000000009104: D048004A 00023D1E
	v_bfe_u32 v248, v30, 16, 1                                 // 00000000910C: D1C800F8 0205211E
	v_add3_u32 v248, v30, v248, v251                           // 000000009114: D1FF00F8 07EFF11E
	v_cndmask_b32_e64 v28, v248, v250, s[74:75]                // 00000000911C: D100001C 012BF5F8
	v_lshrrev_b32_e32 v28, 16, v28                             // 000000009124: 20383890
	v_cmp_u_f32_e64 s[74:75], v31, v31                         // 000000009128: D048004A 00023F1F
	v_bfe_u32 v248, v31, 16, 1                                 // 000000009130: D1C800F8 0205211F
	v_add3_u32 v248, v31, v248, v251                           // 000000009138: D1FF00F8 07EFF11F
	v_cndmask_b32_e64 v29, v248, v250, s[74:75]                // 000000009140: D100001D 012BF5F8
	v_and_or_b32 v48, v29, v249, v28                           // 000000009148: D2010030 0473F31D
	v_accvgpr_read_b32 v30, a162                               // 000000009150: D3D8401E 180001A2
	v_accvgpr_read_b32 v31, a163                               // 000000009158: D3D8401F 180001A3
	v_mul_f32_e32 v30, s47, v30                                // 000000009160: 0A3C3C2F
	v_mul_f32_e32 v31, s47, v31                                // 000000009164: 0A3E3E2F
	v_cmp_u_f32_e64 s[74:75], v30, v30                         // 000000009168: D048004A 00023D1E
	v_bfe_u32 v248, v30, 16, 1                                 // 000000009170: D1C800F8 0205211E
	v_add3_u32 v248, v30, v248, v251                           // 000000009178: D1FF00F8 07EFF11E
	v_cndmask_b32_e64 v28, v248, v250, s[74:75]                // 000000009180: D100001C 012BF5F8
	v_lshrrev_b32_e32 v28, 16, v28                             // 000000009188: 20383890
	v_cmp_u_f32_e64 s[74:75], v31, v31                         // 00000000918C: D048004A 00023F1F
	v_bfe_u32 v248, v31, 16, 1                                 // 000000009194: D1C800F8 0205211F
	v_add3_u32 v248, v31, v248, v251                           // 00000000919C: D1FF00F8 07EFF11F
	v_cndmask_b32_e64 v29, v248, v250, s[74:75]                // 0000000091A4: D100001D 012BF5F8
	v_and_or_b32 v49, v29, v249, v28                           // 0000000091AC: D2010031 0473F31D
	v_accvgpr_read_b32 v30, a164                               // 0000000091B4: D3D8401E 180001A4
	v_accvgpr_read_b32 v31, a165                               // 0000000091BC: D3D8401F 180001A5
	v_mul_f32_e32 v30, s47, v30                                // 0000000091C4: 0A3C3C2F
	v_mul_f32_e32 v31, s47, v31                                // 0000000091C8: 0A3E3E2F
	v_cmp_u_f32_e64 s[74:75], v30, v30                         // 0000000091CC: D048004A 00023D1E
	v_bfe_u32 v248, v30, 16, 1                                 // 0000000091D4: D1C800F8 0205211E
	v_add3_u32 v248, v30, v248, v251                           // 0000000091DC: D1FF00F8 07EFF11E
	v_cndmask_b32_e64 v28, v248, v250, s[74:75]                // 0000000091E4: D100001C 012BF5F8
	v_lshrrev_b32_e32 v28, 16, v28                             // 0000000091EC: 20383890
	v_cmp_u_f32_e64 s[74:75], v31, v31                         // 0000000091F0: D048004A 00023F1F
	v_bfe_u32 v248, v31, 16, 1                                 // 0000000091F8: D1C800F8 0205211F
	v_add3_u32 v248, v31, v248, v251                           // 000000009200: D1FF00F8 07EFF11F
	v_cndmask_b32_e64 v29, v248, v250, s[74:75]                // 000000009208: D100001D 012BF5F8
	v_and_or_b32 v50, v29, v249, v28                           // 000000009210: D2010032 0473F31D
	v_accvgpr_read_b32 v30, a166                               // 000000009218: D3D8401E 180001A6
	v_accvgpr_read_b32 v31, a167                               // 000000009220: D3D8401F 180001A7
	v_mul_f32_e32 v30, s47, v30                                // 000000009228: 0A3C3C2F
	v_mul_f32_e32 v31, s47, v31                                // 00000000922C: 0A3E3E2F
	v_cmp_u_f32_e64 s[74:75], v30, v30                         // 000000009230: D048004A 00023D1E
	v_bfe_u32 v248, v30, 16, 1                                 // 000000009238: D1C800F8 0205211E
	v_add3_u32 v248, v30, v248, v251                           // 000000009240: D1FF00F8 07EFF11E
	v_cndmask_b32_e64 v28, v248, v250, s[74:75]                // 000000009248: D100001C 012BF5F8
	v_lshrrev_b32_e32 v28, 16, v28                             // 000000009250: 20383890
	v_cmp_u_f32_e64 s[74:75], v31, v31                         // 000000009254: D048004A 00023F1F
	v_bfe_u32 v248, v31, 16, 1                                 // 00000000925C: D1C800F8 0205211F
	v_add3_u32 v248, v31, v248, v251                           // 000000009264: D1FF00F8 07EFF11F
	v_cndmask_b32_e64 v29, v248, v250, s[74:75]                // 00000000926C: D100001D 012BF5F8
	v_and_or_b32 v51, v29, v249, v28                           // 000000009274: D2010033 0473F31D
	v_accvgpr_read_b32 v30, a168                               // 00000000927C: D3D8401E 180001A8
	v_accvgpr_read_b32 v31, a169                               // 000000009284: D3D8401F 180001A9
	v_mul_f32_e32 v30, s47, v30                                // 00000000928C: 0A3C3C2F
	v_mul_f32_e32 v31, s47, v31                                // 000000009290: 0A3E3E2F
	v_cmp_u_f32_e64 s[74:75], v30, v30                         // 000000009294: D048004A 00023D1E
	v_bfe_u32 v248, v30, 16, 1                                 // 00000000929C: D1C800F8 0205211E
	v_add3_u32 v248, v30, v248, v251                           // 0000000092A4: D1FF00F8 07EFF11E
	v_cndmask_b32_e64 v28, v248, v250, s[74:75]                // 0000000092AC: D100001C 012BF5F8
	v_lshrrev_b32_e32 v28, 16, v28                             // 0000000092B4: 20383890
	v_cmp_u_f32_e64 s[74:75], v31, v31                         // 0000000092B8: D048004A 00023F1F
	v_bfe_u32 v248, v31, 16, 1                                 // 0000000092C0: D1C800F8 0205211F
	v_add3_u32 v248, v31, v248, v251                           // 0000000092C8: D1FF00F8 07EFF11F
	v_cndmask_b32_e64 v29, v248, v250, s[74:75]                // 0000000092D0: D100001D 012BF5F8
	v_and_or_b32 v52, v29, v249, v28                           // 0000000092D8: D2010034 0473F31D
	v_accvgpr_read_b32 v30, a170                               // 0000000092E0: D3D8401E 180001AA
	v_accvgpr_read_b32 v31, a171                               // 0000000092E8: D3D8401F 180001AB
	v_mul_f32_e32 v30, s47, v30                                // 0000000092F0: 0A3C3C2F
	v_mul_f32_e32 v31, s47, v31                                // 0000000092F4: 0A3E3E2F
	v_cmp_u_f32_e64 s[74:75], v30, v30                         // 0000000092F8: D048004A 00023D1E
	v_bfe_u32 v248, v30, 16, 1                                 // 000000009300: D1C800F8 0205211E
	v_add3_u32 v248, v30, v248, v251                           // 000000009308: D1FF00F8 07EFF11E
	v_cndmask_b32_e64 v28, v248, v250, s[74:75]                // 000000009310: D100001C 012BF5F8
	v_lshrrev_b32_e32 v28, 16, v28                             // 000000009318: 20383890
	v_cmp_u_f32_e64 s[74:75], v31, v31                         // 00000000931C: D048004A 00023F1F
	v_bfe_u32 v248, v31, 16, 1                                 // 000000009324: D1C800F8 0205211F
	v_add3_u32 v248, v31, v248, v251                           // 00000000932C: D1FF00F8 07EFF11F
	v_cndmask_b32_e64 v29, v248, v250, s[74:75]                // 000000009334: D100001D 012BF5F8
	v_and_or_b32 v53, v29, v249, v28                           // 00000000933C: D2010035 0473F31D
	v_accvgpr_read_b32 v30, a172                               // 000000009344: D3D8401E 180001AC
	v_accvgpr_read_b32 v31, a173                               // 00000000934C: D3D8401F 180001AD
	v_mul_f32_e32 v30, s47, v30                                // 000000009354: 0A3C3C2F
	v_mul_f32_e32 v31, s47, v31                                // 000000009358: 0A3E3E2F
	v_cmp_u_f32_e64 s[74:75], v30, v30                         // 00000000935C: D048004A 00023D1E
	v_bfe_u32 v248, v30, 16, 1                                 // 000000009364: D1C800F8 0205211E
	v_add3_u32 v248, v30, v248, v251                           // 00000000936C: D1FF00F8 07EFF11E
	v_cndmask_b32_e64 v28, v248, v250, s[74:75]                // 000000009374: D100001C 012BF5F8
	v_lshrrev_b32_e32 v28, 16, v28                             // 00000000937C: 20383890
	v_cmp_u_f32_e64 s[74:75], v31, v31                         // 000000009380: D048004A 00023F1F
	v_bfe_u32 v248, v31, 16, 1                                 // 000000009388: D1C800F8 0205211F
	v_add3_u32 v248, v31, v248, v251                           // 000000009390: D1FF00F8 07EFF11F
	v_cndmask_b32_e64 v29, v248, v250, s[74:75]                // 000000009398: D100001D 012BF5F8
	v_and_or_b32 v54, v29, v249, v28                           // 0000000093A0: D2010036 0473F31D
	v_accvgpr_read_b32 v30, a174                               // 0000000093A8: D3D8401E 180001AE
	v_accvgpr_read_b32 v31, a175                               // 0000000093B0: D3D8401F 180001AF
	v_mul_f32_e32 v30, s47, v30                                // 0000000093B8: 0A3C3C2F
	v_mul_f32_e32 v31, s47, v31                                // 0000000093BC: 0A3E3E2F
	v_cmp_u_f32_e64 s[74:75], v30, v30                         // 0000000093C0: D048004A 00023D1E
	v_bfe_u32 v248, v30, 16, 1                                 // 0000000093C8: D1C800F8 0205211E
	v_add3_u32 v248, v30, v248, v251                           // 0000000093D0: D1FF00F8 07EFF11E
	v_cndmask_b32_e64 v28, v248, v250, s[74:75]                // 0000000093D8: D100001C 012BF5F8
	v_lshrrev_b32_e32 v28, 16, v28                             // 0000000093E0: 20383890
	v_cmp_u_f32_e64 s[74:75], v31, v31                         // 0000000093E4: D048004A 00023F1F
	v_bfe_u32 v248, v31, 16, 1                                 // 0000000093EC: D1C800F8 0205211F
	v_add3_u32 v248, v31, v248, v251                           // 0000000093F4: D1FF00F8 07EFF11F
	v_cndmask_b32_e64 v29, v248, v250, s[74:75]                // 0000000093FC: D100001D 012BF5F8
	v_and_or_b32 v55, v29, v249, v28                           // 000000009404: D2010037 0473F31D
	v_accvgpr_read_b32 v30, a176                               // 00000000940C: D3D8401E 180001B0
	v_accvgpr_read_b32 v31, a177                               // 000000009414: D3D8401F 180001B1
	v_mul_f32_e32 v30, s47, v30                                // 00000000941C: 0A3C3C2F
	v_mul_f32_e32 v31, s47, v31                                // 000000009420: 0A3E3E2F
	v_cmp_u_f32_e64 s[74:75], v30, v30                         // 000000009424: D048004A 00023D1E
	v_bfe_u32 v248, v30, 16, 1                                 // 00000000942C: D1C800F8 0205211E
	v_add3_u32 v248, v30, v248, v251                           // 000000009434: D1FF00F8 07EFF11E
	v_cndmask_b32_e64 v28, v248, v250, s[74:75]                // 00000000943C: D100001C 012BF5F8
	v_lshrrev_b32_e32 v28, 16, v28                             // 000000009444: 20383890
	v_cmp_u_f32_e64 s[74:75], v31, v31                         // 000000009448: D048004A 00023F1F
	v_bfe_u32 v248, v31, 16, 1                                 // 000000009450: D1C800F8 0205211F
	v_add3_u32 v248, v31, v248, v251                           // 000000009458: D1FF00F8 07EFF11F
	v_cndmask_b32_e64 v29, v248, v250, s[74:75]                // 000000009460: D100001D 012BF5F8
	v_and_or_b32 v56, v29, v249, v28                           // 000000009468: D2010038 0473F31D
	v_accvgpr_read_b32 v30, a178                               // 000000009470: D3D8401E 180001B2
	v_accvgpr_read_b32 v31, a179                               // 000000009478: D3D8401F 180001B3
	v_mul_f32_e32 v30, s47, v30                                // 000000009480: 0A3C3C2F
	v_mul_f32_e32 v31, s47, v31                                // 000000009484: 0A3E3E2F
	v_cmp_u_f32_e64 s[74:75], v30, v30                         // 000000009488: D048004A 00023D1E
	v_bfe_u32 v248, v30, 16, 1                                 // 000000009490: D1C800F8 0205211E
	v_add3_u32 v248, v30, v248, v251                           // 000000009498: D1FF00F8 07EFF11E
	v_cndmask_b32_e64 v28, v248, v250, s[74:75]                // 0000000094A0: D100001C 012BF5F8
	v_lshrrev_b32_e32 v28, 16, v28                             // 0000000094A8: 20383890
	v_cmp_u_f32_e64 s[74:75], v31, v31                         // 0000000094AC: D048004A 00023F1F
	v_bfe_u32 v248, v31, 16, 1                                 // 0000000094B4: D1C800F8 0205211F
	v_add3_u32 v248, v31, v248, v251                           // 0000000094BC: D1FF00F8 07EFF11F
	v_cndmask_b32_e64 v29, v248, v250, s[74:75]                // 0000000094C4: D100001D 012BF5F8
	v_and_or_b32 v57, v29, v249, v28                           // 0000000094CC: D2010039 0473F31D
	v_accvgpr_read_b32 v30, a180                               // 0000000094D4: D3D8401E 180001B4
	v_accvgpr_read_b32 v31, a181                               // 0000000094DC: D3D8401F 180001B5
	v_mul_f32_e32 v30, s47, v30                                // 0000000094E4: 0A3C3C2F
	v_mul_f32_e32 v31, s47, v31                                // 0000000094E8: 0A3E3E2F
	v_cmp_u_f32_e64 s[74:75], v30, v30                         // 0000000094EC: D048004A 00023D1E
	v_bfe_u32 v248, v30, 16, 1                                 // 0000000094F4: D1C800F8 0205211E
	v_add3_u32 v248, v30, v248, v251                           // 0000000094FC: D1FF00F8 07EFF11E
	v_cndmask_b32_e64 v28, v248, v250, s[74:75]                // 000000009504: D100001C 012BF5F8
	v_lshrrev_b32_e32 v28, 16, v28                             // 00000000950C: 20383890
	v_cmp_u_f32_e64 s[74:75], v31, v31                         // 000000009510: D048004A 00023F1F
	v_bfe_u32 v248, v31, 16, 1                                 // 000000009518: D1C800F8 0205211F
	v_add3_u32 v248, v31, v248, v251                           // 000000009520: D1FF00F8 07EFF11F
	v_cndmask_b32_e64 v29, v248, v250, s[74:75]                // 000000009528: D100001D 012BF5F8
	v_and_or_b32 v58, v29, v249, v28                           // 000000009530: D201003A 0473F31D
	v_accvgpr_read_b32 v30, a182                               // 000000009538: D3D8401E 180001B6
	v_accvgpr_read_b32 v31, a183                               // 000000009540: D3D8401F 180001B7
	v_mul_f32_e32 v30, s47, v30                                // 000000009548: 0A3C3C2F
	v_mul_f32_e32 v31, s47, v31                                // 00000000954C: 0A3E3E2F
	v_cmp_u_f32_e64 s[74:75], v30, v30                         // 000000009550: D048004A 00023D1E
	v_bfe_u32 v248, v30, 16, 1                                 // 000000009558: D1C800F8 0205211E
	v_add3_u32 v248, v30, v248, v251                           // 000000009560: D1FF00F8 07EFF11E
	v_cndmask_b32_e64 v28, v248, v250, s[74:75]                // 000000009568: D100001C 012BF5F8
	v_lshrrev_b32_e32 v28, 16, v28                             // 000000009570: 20383890
	v_cmp_u_f32_e64 s[74:75], v31, v31                         // 000000009574: D048004A 00023F1F
	v_bfe_u32 v248, v31, 16, 1                                 // 00000000957C: D1C800F8 0205211F
	v_add3_u32 v248, v31, v248, v251                           // 000000009584: D1FF00F8 07EFF11F
	v_cndmask_b32_e64 v29, v248, v250, s[74:75]                // 00000000958C: D100001D 012BF5F8
	v_and_or_b32 v59, v29, v249, v28                           // 000000009594: D201003B 0473F31D
	v_accvgpr_read_b32 v30, a184                               // 00000000959C: D3D8401E 180001B8
	v_accvgpr_read_b32 v31, a185                               // 0000000095A4: D3D8401F 180001B9
	v_mul_f32_e32 v30, s47, v30                                // 0000000095AC: 0A3C3C2F
	v_mul_f32_e32 v31, s47, v31                                // 0000000095B0: 0A3E3E2F
	v_cmp_u_f32_e64 s[74:75], v30, v30                         // 0000000095B4: D048004A 00023D1E
	v_bfe_u32 v248, v30, 16, 1                                 // 0000000095BC: D1C800F8 0205211E
	v_add3_u32 v248, v30, v248, v251                           // 0000000095C4: D1FF00F8 07EFF11E
	v_cndmask_b32_e64 v28, v248, v250, s[74:75]                // 0000000095CC: D100001C 012BF5F8
	v_lshrrev_b32_e32 v28, 16, v28                             // 0000000095D4: 20383890
	v_cmp_u_f32_e64 s[74:75], v31, v31                         // 0000000095D8: D048004A 00023F1F
	v_bfe_u32 v248, v31, 16, 1                                 // 0000000095E0: D1C800F8 0205211F
	v_add3_u32 v248, v31, v248, v251                           // 0000000095E8: D1FF00F8 07EFF11F
	v_cndmask_b32_e64 v29, v248, v250, s[74:75]                // 0000000095F0: D100001D 012BF5F8
	v_and_or_b32 v60, v29, v249, v28                           // 0000000095F8: D201003C 0473F31D
	v_accvgpr_read_b32 v30, a186                               // 000000009600: D3D8401E 180001BA
	v_accvgpr_read_b32 v31, a187                               // 000000009608: D3D8401F 180001BB
	v_mul_f32_e32 v30, s47, v30                                // 000000009610: 0A3C3C2F
	v_mul_f32_e32 v31, s47, v31                                // 000000009614: 0A3E3E2F
	v_cmp_u_f32_e64 s[74:75], v30, v30                         // 000000009618: D048004A 00023D1E
	v_bfe_u32 v248, v30, 16, 1                                 // 000000009620: D1C800F8 0205211E
	v_add3_u32 v248, v30, v248, v251                           // 000000009628: D1FF00F8 07EFF11E
	v_cndmask_b32_e64 v28, v248, v250, s[74:75]                // 000000009630: D100001C 012BF5F8
	v_lshrrev_b32_e32 v28, 16, v28                             // 000000009638: 20383890
	v_cmp_u_f32_e64 s[74:75], v31, v31                         // 00000000963C: D048004A 00023F1F
	v_bfe_u32 v248, v31, 16, 1                                 // 000000009644: D1C800F8 0205211F
	v_add3_u32 v248, v31, v248, v251                           // 00000000964C: D1FF00F8 07EFF11F
	v_cndmask_b32_e64 v29, v248, v250, s[74:75]                // 000000009654: D100001D 012BF5F8
	v_and_or_b32 v61, v29, v249, v28                           // 00000000965C: D201003D 0473F31D
	v_accvgpr_read_b32 v30, a188                               // 000000009664: D3D8401E 180001BC
	v_accvgpr_read_b32 v31, a189                               // 00000000966C: D3D8401F 180001BD
	v_mul_f32_e32 v30, s47, v30                                // 000000009674: 0A3C3C2F
	v_mul_f32_e32 v31, s47, v31                                // 000000009678: 0A3E3E2F
	v_cmp_u_f32_e64 s[74:75], v30, v30                         // 00000000967C: D048004A 00023D1E
	v_bfe_u32 v248, v30, 16, 1                                 // 000000009684: D1C800F8 0205211E
	v_add3_u32 v248, v30, v248, v251                           // 00000000968C: D1FF00F8 07EFF11E
	v_cndmask_b32_e64 v28, v248, v250, s[74:75]                // 000000009694: D100001C 012BF5F8
	v_lshrrev_b32_e32 v28, 16, v28                             // 00000000969C: 20383890
	v_cmp_u_f32_e64 s[74:75], v31, v31                         // 0000000096A0: D048004A 00023F1F
	v_bfe_u32 v248, v31, 16, 1                                 // 0000000096A8: D1C800F8 0205211F
	v_add3_u32 v248, v31, v248, v251                           // 0000000096B0: D1FF00F8 07EFF11F
	v_cndmask_b32_e64 v29, v248, v250, s[74:75]                // 0000000096B8: D100001D 012BF5F8
	v_and_or_b32 v62, v29, v249, v28                           // 0000000096C0: D201003E 0473F31D
	v_accvgpr_read_b32 v30, a190                               // 0000000096C8: D3D8401E 180001BE
	v_accvgpr_read_b32 v31, a191                               // 0000000096D0: D3D8401F 180001BF
	v_mul_f32_e32 v30, s47, v30                                // 0000000096D8: 0A3C3C2F
	v_mul_f32_e32 v31, s47, v31                                // 0000000096DC: 0A3E3E2F
	v_cmp_u_f32_e64 s[74:75], v30, v30                         // 0000000096E0: D048004A 00023D1E
	v_bfe_u32 v248, v30, 16, 1                                 // 0000000096E8: D1C800F8 0205211E
	v_add3_u32 v248, v30, v248, v251                           // 0000000096F0: D1FF00F8 07EFF11E
	v_cndmask_b32_e64 v28, v248, v250, s[74:75]                // 0000000096F8: D100001C 012BF5F8
	v_lshrrev_b32_e32 v28, 16, v28                             // 000000009700: 20383890
	v_cmp_u_f32_e64 s[74:75], v31, v31                         // 000000009704: D048004A 00023F1F
	v_bfe_u32 v248, v31, 16, 1                                 // 00000000970C: D1C800F8 0205211F
	v_add3_u32 v248, v31, v248, v251                           // 000000009714: D1FF00F8 07EFF11F
	v_cndmask_b32_e64 v29, v248, v250, s[74:75]                // 00000000971C: D100001D 012BF5F8
	v_and_or_b32 v63, v29, v249, v28                           // 000000009724: D201003F 0473F31D
	ds_write_b64 v25, v[48:49]                                 // 00000000972C: D89A0000 00003019
	ds_write_b64 v25, v[50:51] offset:528                      // 000000009734: D89A0210 00003219
	ds_write_b64 v25, v[52:53] offset:1056                     // 00000000973C: D89A0420 00003419
	ds_write_b64 v25, v[54:55] offset:1584                     // 000000009744: D89A0630 00003619
	ds_write_b64 v25, v[56:57] offset:2112                     // 00000000974C: D89A0840 00003819
	ds_write_b64 v25, v[58:59] offset:2640                     // 000000009754: D89A0A50 00003A19
	ds_write_b64 v25, v[60:61] offset:3168                     // 00000000975C: D89A0C60 00003C19
	ds_write_b64 v25, v[62:63] offset:3696                     // 000000009764: D89A0E70 00003E19
	s_waitcnt lgkmcnt(0)                                       // 00000000976C: BF8CC07F
	s_barrier                                                  // 000000009770: BF8A0000
	ds_read_b64 v[48:49], v24                                  // 000000009774: D8EC0000 30000018
	ds_read_b64 v[50:51], v24 offset:128                       // 00000000977C: D8EC0080 32000018
	ds_read_b64 v[52:53], v24 offset:32                        // 000000009784: D8EC0020 34000018
	ds_read_b64 v[54:55], v24 offset:160                       // 00000000978C: D8EC00A0 36000018
	ds_read_b64 v[56:57], v24 offset:64                        // 000000009794: D8EC0040 38000018
	ds_read_b64 v[58:59], v24 offset:192                       // 00000000979C: D8EC00C0 3A000018
	ds_read_b64 v[60:61], v24 offset:96                        // 0000000097A4: D8EC0060 3C000018
	ds_read_b64 v[62:63], v24 offset:224                       // 0000000097AC: D8EC00E0 3E000018
	s_waitcnt lgkmcnt(0)                                       // 0000000097B4: BF8CC07F
	s_mov_b32 s70, s52                                         // 0000000097B8: BEC60034
	s_mov_b64 exec, s[88:89]                                   // 0000000097BC: BEFE0158
	buffer_store_dwordx4 v[48:51], v5, s[36:39], 0 idxen       // 0000000097C0: E07C2000 80093005
	s_mov_b64 exec, s[84:85]                                   // 0000000097C8: BEFE0154
	v_add_u32_e32 v5, s70, v5                                  // 0000000097CC: 680A0A46
	s_mov_b64 exec, s[88:89]                                   // 0000000097D0: BEFE0158
	buffer_store_dwordx4 v[52:55], v5, s[36:39], 0 idxen       // 0000000097D4: E07C2000 80093405
	s_mov_b64 exec, s[84:85]                                   // 0000000097DC: BEFE0154
	v_add_u32_e32 v5, s70, v5                                  // 0000000097E0: 680A0A46
	s_mov_b64 exec, s[88:89]                                   // 0000000097E4: BEFE0158
	buffer_store_dwordx4 v[56:59], v5, s[36:39], 0 idxen       // 0000000097E8: E07C2000 80093805
	s_mov_b64 exec, s[84:85]                                   // 0000000097F0: BEFE0154
	v_add_u32_e32 v5, s70, v5                                  // 0000000097F4: 680A0A46
	s_mov_b64 exec, s[88:89]                                   // 0000000097F8: BEFE0158
	buffer_store_dwordx4 v[60:63], v5, s[36:39], 0 idxen       // 0000000097FC: E07C2000 80093C05
	s_mov_b64 exec, s[84:85]                                   // 000000009804: BEFE0154
	v_add_u32_e32 v5, s70, v5                                  // 000000009808: 680A0A46
	s_mul_i32 s60, 12, s70                                     // 00000000980C: 923C468C
	v_add_u32_e32 v5, s60, v5                                  // 000000009810: 680A0A3C
	s_barrier                                                  // 000000009814: BF8A0000
	s_cmp_ge_i32 1, s73                                        // 000000009818: BF034981
	s_cbranch_scc1 label_1A36                                  // 00000000981C: BF85039A
	v_accvgpr_read_b32 v30, a192                               // 000000009820: D3D8401E 180001C0
	v_accvgpr_read_b32 v31, a193                               // 000000009828: D3D8401F 180001C1
	v_mul_f32_e32 v30, s47, v30                                // 000000009830: 0A3C3C2F
	v_mul_f32_e32 v31, s47, v31                                // 000000009834: 0A3E3E2F
	v_cmp_u_f32_e64 s[74:75], v30, v30                         // 000000009838: D048004A 00023D1E
	v_bfe_u32 v248, v30, 16, 1                                 // 000000009840: D1C800F8 0205211E
	v_add3_u32 v248, v30, v248, v251                           // 000000009848: D1FF00F8 07EFF11E
	v_cndmask_b32_e64 v28, v248, v250, s[74:75]                // 000000009850: D100001C 012BF5F8
	v_lshrrev_b32_e32 v28, 16, v28                             // 000000009858: 20383890
	v_cmp_u_f32_e64 s[74:75], v31, v31                         // 00000000985C: D048004A 00023F1F
	v_bfe_u32 v248, v31, 16, 1                                 // 000000009864: D1C800F8 0205211F
	v_add3_u32 v248, v31, v248, v251                           // 00000000986C: D1FF00F8 07EFF11F
	v_cndmask_b32_e64 v29, v248, v250, s[74:75]                // 000000009874: D100001D 012BF5F8
	v_and_or_b32 v64, v29, v249, v28                           // 00000000987C: D2010040 0473F31D
	v_accvgpr_read_b32 v30, a194                               // 000000009884: D3D8401E 180001C2
	v_accvgpr_read_b32 v31, a195                               // 00000000988C: D3D8401F 180001C3
	v_mul_f32_e32 v30, s47, v30                                // 000000009894: 0A3C3C2F
	v_mul_f32_e32 v31, s47, v31                                // 000000009898: 0A3E3E2F
	v_cmp_u_f32_e64 s[74:75], v30, v30                         // 00000000989C: D048004A 00023D1E
	v_bfe_u32 v248, v30, 16, 1                                 // 0000000098A4: D1C800F8 0205211E
	v_add3_u32 v248, v30, v248, v251                           // 0000000098AC: D1FF00F8 07EFF11E
	v_cndmask_b32_e64 v28, v248, v250, s[74:75]                // 0000000098B4: D100001C 012BF5F8
	v_lshrrev_b32_e32 v28, 16, v28                             // 0000000098BC: 20383890
	v_cmp_u_f32_e64 s[74:75], v31, v31                         // 0000000098C0: D048004A 00023F1F
	v_bfe_u32 v248, v31, 16, 1                                 // 0000000098C8: D1C800F8 0205211F
	v_add3_u32 v248, v31, v248, v251                           // 0000000098D0: D1FF00F8 07EFF11F
	v_cndmask_b32_e64 v29, v248, v250, s[74:75]                // 0000000098D8: D100001D 012BF5F8
	v_and_or_b32 v65, v29, v249, v28                           // 0000000098E0: D2010041 0473F31D
	v_accvgpr_read_b32 v30, a196                               // 0000000098E8: D3D8401E 180001C4
	v_accvgpr_read_b32 v31, a197                               // 0000000098F0: D3D8401F 180001C5
	v_mul_f32_e32 v30, s47, v30                                // 0000000098F8: 0A3C3C2F
	v_mul_f32_e32 v31, s47, v31                                // 0000000098FC: 0A3E3E2F
	v_cmp_u_f32_e64 s[74:75], v30, v30                         // 000000009900: D048004A 00023D1E
	v_bfe_u32 v248, v30, 16, 1                                 // 000000009908: D1C800F8 0205211E
	v_add3_u32 v248, v30, v248, v251                           // 000000009910: D1FF00F8 07EFF11E
	v_cndmask_b32_e64 v28, v248, v250, s[74:75]                // 000000009918: D100001C 012BF5F8
	v_lshrrev_b32_e32 v28, 16, v28                             // 000000009920: 20383890
	v_cmp_u_f32_e64 s[74:75], v31, v31                         // 000000009924: D048004A 00023F1F
	v_bfe_u32 v248, v31, 16, 1                                 // 00000000992C: D1C800F8 0205211F
	v_add3_u32 v248, v31, v248, v251                           // 000000009934: D1FF00F8 07EFF11F
	v_cndmask_b32_e64 v29, v248, v250, s[74:75]                // 00000000993C: D100001D 012BF5F8
	v_and_or_b32 v66, v29, v249, v28                           // 000000009944: D2010042 0473F31D
	v_accvgpr_read_b32 v30, a198                               // 00000000994C: D3D8401E 180001C6
	v_accvgpr_read_b32 v31, a199                               // 000000009954: D3D8401F 180001C7
	v_mul_f32_e32 v30, s47, v30                                // 00000000995C: 0A3C3C2F
	v_mul_f32_e32 v31, s47, v31                                // 000000009960: 0A3E3E2F
	v_cmp_u_f32_e64 s[74:75], v30, v30                         // 000000009964: D048004A 00023D1E
	v_bfe_u32 v248, v30, 16, 1                                 // 00000000996C: D1C800F8 0205211E
	v_add3_u32 v248, v30, v248, v251                           // 000000009974: D1FF00F8 07EFF11E
	v_cndmask_b32_e64 v28, v248, v250, s[74:75]                // 00000000997C: D100001C 012BF5F8
	v_lshrrev_b32_e32 v28, 16, v28                             // 000000009984: 20383890
	v_cmp_u_f32_e64 s[74:75], v31, v31                         // 000000009988: D048004A 00023F1F
	v_bfe_u32 v248, v31, 16, 1                                 // 000000009990: D1C800F8 0205211F
	v_add3_u32 v248, v31, v248, v251                           // 000000009998: D1FF00F8 07EFF11F
	v_cndmask_b32_e64 v29, v248, v250, s[74:75]                // 0000000099A0: D100001D 012BF5F8
	v_and_or_b32 v67, v29, v249, v28                           // 0000000099A8: D2010043 0473F31D
	v_accvgpr_read_b32 v30, a200                               // 0000000099B0: D3D8401E 180001C8
	v_accvgpr_read_b32 v31, a201                               // 0000000099B8: D3D8401F 180001C9
	v_mul_f32_e32 v30, s47, v30                                // 0000000099C0: 0A3C3C2F
	v_mul_f32_e32 v31, s47, v31                                // 0000000099C4: 0A3E3E2F
	v_cmp_u_f32_e64 s[74:75], v30, v30                         // 0000000099C8: D048004A 00023D1E
	v_bfe_u32 v248, v30, 16, 1                                 // 0000000099D0: D1C800F8 0205211E
	v_add3_u32 v248, v30, v248, v251                           // 0000000099D8: D1FF00F8 07EFF11E
	v_cndmask_b32_e64 v28, v248, v250, s[74:75]                // 0000000099E0: D100001C 012BF5F8
	v_lshrrev_b32_e32 v28, 16, v28                             // 0000000099E8: 20383890
	v_cmp_u_f32_e64 s[74:75], v31, v31                         // 0000000099EC: D048004A 00023F1F
	v_bfe_u32 v248, v31, 16, 1                                 // 0000000099F4: D1C800F8 0205211F
	v_add3_u32 v248, v31, v248, v251                           // 0000000099FC: D1FF00F8 07EFF11F
	v_cndmask_b32_e64 v29, v248, v250, s[74:75]                // 000000009A04: D100001D 012BF5F8
	v_and_or_b32 v68, v29, v249, v28                           // 000000009A0C: D2010044 0473F31D
	v_accvgpr_read_b32 v30, a202                               // 000000009A14: D3D8401E 180001CA
	v_accvgpr_read_b32 v31, a203                               // 000000009A1C: D3D8401F 180001CB
	v_mul_f32_e32 v30, s47, v30                                // 000000009A24: 0A3C3C2F
	v_mul_f32_e32 v31, s47, v31                                // 000000009A28: 0A3E3E2F
	v_cmp_u_f32_e64 s[74:75], v30, v30                         // 000000009A2C: D048004A 00023D1E
	v_bfe_u32 v248, v30, 16, 1                                 // 000000009A34: D1C800F8 0205211E
	v_add3_u32 v248, v30, v248, v251                           // 000000009A3C: D1FF00F8 07EFF11E
	v_cndmask_b32_e64 v28, v248, v250, s[74:75]                // 000000009A44: D100001C 012BF5F8
	v_lshrrev_b32_e32 v28, 16, v28                             // 000000009A4C: 20383890
	v_cmp_u_f32_e64 s[74:75], v31, v31                         // 000000009A50: D048004A 00023F1F
	v_bfe_u32 v248, v31, 16, 1                                 // 000000009A58: D1C800F8 0205211F
	v_add3_u32 v248, v31, v248, v251                           // 000000009A60: D1FF00F8 07EFF11F
	v_cndmask_b32_e64 v29, v248, v250, s[74:75]                // 000000009A68: D100001D 012BF5F8
	v_and_or_b32 v69, v29, v249, v28                           // 000000009A70: D2010045 0473F31D
	v_accvgpr_read_b32 v30, a204                               // 000000009A78: D3D8401E 180001CC
	v_accvgpr_read_b32 v31, a205                               // 000000009A80: D3D8401F 180001CD
	v_mul_f32_e32 v30, s47, v30                                // 000000009A88: 0A3C3C2F
	v_mul_f32_e32 v31, s47, v31                                // 000000009A8C: 0A3E3E2F
	v_cmp_u_f32_e64 s[74:75], v30, v30                         // 000000009A90: D048004A 00023D1E
	v_bfe_u32 v248, v30, 16, 1                                 // 000000009A98: D1C800F8 0205211E
	v_add3_u32 v248, v30, v248, v251                           // 000000009AA0: D1FF00F8 07EFF11E
	v_cndmask_b32_e64 v28, v248, v250, s[74:75]                // 000000009AA8: D100001C 012BF5F8
	v_lshrrev_b32_e32 v28, 16, v28                             // 000000009AB0: 20383890
	v_cmp_u_f32_e64 s[74:75], v31, v31                         // 000000009AB4: D048004A 00023F1F
	v_bfe_u32 v248, v31, 16, 1                                 // 000000009ABC: D1C800F8 0205211F
	v_add3_u32 v248, v31, v248, v251                           // 000000009AC4: D1FF00F8 07EFF11F
	v_cndmask_b32_e64 v29, v248, v250, s[74:75]                // 000000009ACC: D100001D 012BF5F8
	v_and_or_b32 v70, v29, v249, v28                           // 000000009AD4: D2010046 0473F31D
	v_accvgpr_read_b32 v30, a206                               // 000000009ADC: D3D8401E 180001CE
	v_accvgpr_read_b32 v31, a207                               // 000000009AE4: D3D8401F 180001CF
	v_mul_f32_e32 v30, s47, v30                                // 000000009AEC: 0A3C3C2F
	v_mul_f32_e32 v31, s47, v31                                // 000000009AF0: 0A3E3E2F
	v_cmp_u_f32_e64 s[74:75], v30, v30                         // 000000009AF4: D048004A 00023D1E
	v_bfe_u32 v248, v30, 16, 1                                 // 000000009AFC: D1C800F8 0205211E
	v_add3_u32 v248, v30, v248, v251                           // 000000009B04: D1FF00F8 07EFF11E
	v_cndmask_b32_e64 v28, v248, v250, s[74:75]                // 000000009B0C: D100001C 012BF5F8
	v_lshrrev_b32_e32 v28, 16, v28                             // 000000009B14: 20383890
	v_cmp_u_f32_e64 s[74:75], v31, v31                         // 000000009B18: D048004A 00023F1F
	v_bfe_u32 v248, v31, 16, 1                                 // 000000009B20: D1C800F8 0205211F
	v_add3_u32 v248, v31, v248, v251                           // 000000009B28: D1FF00F8 07EFF11F
	v_cndmask_b32_e64 v29, v248, v250, s[74:75]                // 000000009B30: D100001D 012BF5F8
	v_and_or_b32 v71, v29, v249, v28                           // 000000009B38: D2010047 0473F31D
	v_accvgpr_read_b32 v30, a208                               // 000000009B40: D3D8401E 180001D0
	v_accvgpr_read_b32 v31, a209                               // 000000009B48: D3D8401F 180001D1
	v_mul_f32_e32 v30, s47, v30                                // 000000009B50: 0A3C3C2F
	v_mul_f32_e32 v31, s47, v31                                // 000000009B54: 0A3E3E2F
	v_cmp_u_f32_e64 s[74:75], v30, v30                         // 000000009B58: D048004A 00023D1E
	v_bfe_u32 v248, v30, 16, 1                                 // 000000009B60: D1C800F8 0205211E
	v_add3_u32 v248, v30, v248, v251                           // 000000009B68: D1FF00F8 07EFF11E
	v_cndmask_b32_e64 v28, v248, v250, s[74:75]                // 000000009B70: D100001C 012BF5F8
	v_lshrrev_b32_e32 v28, 16, v28                             // 000000009B78: 20383890
	v_cmp_u_f32_e64 s[74:75], v31, v31                         // 000000009B7C: D048004A 00023F1F
	v_bfe_u32 v248, v31, 16, 1                                 // 000000009B84: D1C800F8 0205211F
	v_add3_u32 v248, v31, v248, v251                           // 000000009B8C: D1FF00F8 07EFF11F
	v_cndmask_b32_e64 v29, v248, v250, s[74:75]                // 000000009B94: D100001D 012BF5F8
	v_and_or_b32 v72, v29, v249, v28                           // 000000009B9C: D2010048 0473F31D
	v_accvgpr_read_b32 v30, a210                               // 000000009BA4: D3D8401E 180001D2
	v_accvgpr_read_b32 v31, a211                               // 000000009BAC: D3D8401F 180001D3
	v_mul_f32_e32 v30, s47, v30                                // 000000009BB4: 0A3C3C2F
	v_mul_f32_e32 v31, s47, v31                                // 000000009BB8: 0A3E3E2F
	v_cmp_u_f32_e64 s[74:75], v30, v30                         // 000000009BBC: D048004A 00023D1E
	v_bfe_u32 v248, v30, 16, 1                                 // 000000009BC4: D1C800F8 0205211E
	v_add3_u32 v248, v30, v248, v251                           // 000000009BCC: D1FF00F8 07EFF11E
	v_cndmask_b32_e64 v28, v248, v250, s[74:75]                // 000000009BD4: D100001C 012BF5F8
	v_lshrrev_b32_e32 v28, 16, v28                             // 000000009BDC: 20383890
	v_cmp_u_f32_e64 s[74:75], v31, v31                         // 000000009BE0: D048004A 00023F1F
	v_bfe_u32 v248, v31, 16, 1                                 // 000000009BE8: D1C800F8 0205211F
	v_add3_u32 v248, v31, v248, v251                           // 000000009BF0: D1FF00F8 07EFF11F
	v_cndmask_b32_e64 v29, v248, v250, s[74:75]                // 000000009BF8: D100001D 012BF5F8
	v_and_or_b32 v73, v29, v249, v28                           // 000000009C00: D2010049 0473F31D
	v_accvgpr_read_b32 v30, a212                               // 000000009C08: D3D8401E 180001D4
	v_accvgpr_read_b32 v31, a213                               // 000000009C10: D3D8401F 180001D5
	v_mul_f32_e32 v30, s47, v30                                // 000000009C18: 0A3C3C2F
	v_mul_f32_e32 v31, s47, v31                                // 000000009C1C: 0A3E3E2F
	v_cmp_u_f32_e64 s[74:75], v30, v30                         // 000000009C20: D048004A 00023D1E
	v_bfe_u32 v248, v30, 16, 1                                 // 000000009C28: D1C800F8 0205211E
	v_add3_u32 v248, v30, v248, v251                           // 000000009C30: D1FF00F8 07EFF11E
	v_cndmask_b32_e64 v28, v248, v250, s[74:75]                // 000000009C38: D100001C 012BF5F8
	v_lshrrev_b32_e32 v28, 16, v28                             // 000000009C40: 20383890
	v_cmp_u_f32_e64 s[74:75], v31, v31                         // 000000009C44: D048004A 00023F1F
	v_bfe_u32 v248, v31, 16, 1                                 // 000000009C4C: D1C800F8 0205211F
	v_add3_u32 v248, v31, v248, v251                           // 000000009C54: D1FF00F8 07EFF11F
	v_cndmask_b32_e64 v29, v248, v250, s[74:75]                // 000000009C5C: D100001D 012BF5F8
	v_and_or_b32 v74, v29, v249, v28                           // 000000009C64: D201004A 0473F31D
	v_accvgpr_read_b32 v30, a214                               // 000000009C6C: D3D8401E 180001D6
	v_accvgpr_read_b32 v31, a215                               // 000000009C74: D3D8401F 180001D7
	v_mul_f32_e32 v30, s47, v30                                // 000000009C7C: 0A3C3C2F
	v_mul_f32_e32 v31, s47, v31                                // 000000009C80: 0A3E3E2F
	v_cmp_u_f32_e64 s[74:75], v30, v30                         // 000000009C84: D048004A 00023D1E
	v_bfe_u32 v248, v30, 16, 1                                 // 000000009C8C: D1C800F8 0205211E
	v_add3_u32 v248, v30, v248, v251                           // 000000009C94: D1FF00F8 07EFF11E
	v_cndmask_b32_e64 v28, v248, v250, s[74:75]                // 000000009C9C: D100001C 012BF5F8
	v_lshrrev_b32_e32 v28, 16, v28                             // 000000009CA4: 20383890
	v_cmp_u_f32_e64 s[74:75], v31, v31                         // 000000009CA8: D048004A 00023F1F
	v_bfe_u32 v248, v31, 16, 1                                 // 000000009CB0: D1C800F8 0205211F
	v_add3_u32 v248, v31, v248, v251                           // 000000009CB8: D1FF00F8 07EFF11F
	v_cndmask_b32_e64 v29, v248, v250, s[74:75]                // 000000009CC0: D100001D 012BF5F8
	v_and_or_b32 v75, v29, v249, v28                           // 000000009CC8: D201004B 0473F31D
	v_accvgpr_read_b32 v30, a216                               // 000000009CD0: D3D8401E 180001D8
	v_accvgpr_read_b32 v31, a217                               // 000000009CD8: D3D8401F 180001D9
	v_mul_f32_e32 v30, s47, v30                                // 000000009CE0: 0A3C3C2F
	v_mul_f32_e32 v31, s47, v31                                // 000000009CE4: 0A3E3E2F
	v_cmp_u_f32_e64 s[74:75], v30, v30                         // 000000009CE8: D048004A 00023D1E
	v_bfe_u32 v248, v30, 16, 1                                 // 000000009CF0: D1C800F8 0205211E
	v_add3_u32 v248, v30, v248, v251                           // 000000009CF8: D1FF00F8 07EFF11E
	v_cndmask_b32_e64 v28, v248, v250, s[74:75]                // 000000009D00: D100001C 012BF5F8
	v_lshrrev_b32_e32 v28, 16, v28                             // 000000009D08: 20383890
	v_cmp_u_f32_e64 s[74:75], v31, v31                         // 000000009D0C: D048004A 00023F1F
	v_bfe_u32 v248, v31, 16, 1                                 // 000000009D14: D1C800F8 0205211F
	v_add3_u32 v248, v31, v248, v251                           // 000000009D1C: D1FF00F8 07EFF11F
	v_cndmask_b32_e64 v29, v248, v250, s[74:75]                // 000000009D24: D100001D 012BF5F8
	v_and_or_b32 v76, v29, v249, v28                           // 000000009D2C: D201004C 0473F31D
	v_accvgpr_read_b32 v30, a218                               // 000000009D34: D3D8401E 180001DA
	v_accvgpr_read_b32 v31, a219                               // 000000009D3C: D3D8401F 180001DB
	v_mul_f32_e32 v30, s47, v30                                // 000000009D44: 0A3C3C2F
	v_mul_f32_e32 v31, s47, v31                                // 000000009D48: 0A3E3E2F
	v_cmp_u_f32_e64 s[74:75], v30, v30                         // 000000009D4C: D048004A 00023D1E
	v_bfe_u32 v248, v30, 16, 1                                 // 000000009D54: D1C800F8 0205211E
	v_add3_u32 v248, v30, v248, v251                           // 000000009D5C: D1FF00F8 07EFF11E
	v_cndmask_b32_e64 v28, v248, v250, s[74:75]                // 000000009D64: D100001C 012BF5F8
	v_lshrrev_b32_e32 v28, 16, v28                             // 000000009D6C: 20383890
	v_cmp_u_f32_e64 s[74:75], v31, v31                         // 000000009D70: D048004A 00023F1F
	v_bfe_u32 v248, v31, 16, 1                                 // 000000009D78: D1C800F8 0205211F
	v_add3_u32 v248, v31, v248, v251                           // 000000009D80: D1FF00F8 07EFF11F
	v_cndmask_b32_e64 v29, v248, v250, s[74:75]                // 000000009D88: D100001D 012BF5F8
	v_and_or_b32 v77, v29, v249, v28                           // 000000009D90: D201004D 0473F31D
	v_accvgpr_read_b32 v30, a220                               // 000000009D98: D3D8401E 180001DC
	v_accvgpr_read_b32 v31, a221                               // 000000009DA0: D3D8401F 180001DD
	v_mul_f32_e32 v30, s47, v30                                // 000000009DA8: 0A3C3C2F
	v_mul_f32_e32 v31, s47, v31                                // 000000009DAC: 0A3E3E2F
	v_cmp_u_f32_e64 s[74:75], v30, v30                         // 000000009DB0: D048004A 00023D1E
	v_bfe_u32 v248, v30, 16, 1                                 // 000000009DB8: D1C800F8 0205211E
	v_add3_u32 v248, v30, v248, v251                           // 000000009DC0: D1FF00F8 07EFF11E
	v_cndmask_b32_e64 v28, v248, v250, s[74:75]                // 000000009DC8: D100001C 012BF5F8
	v_lshrrev_b32_e32 v28, 16, v28                             // 000000009DD0: 20383890
	v_cmp_u_f32_e64 s[74:75], v31, v31                         // 000000009DD4: D048004A 00023F1F
	v_bfe_u32 v248, v31, 16, 1                                 // 000000009DDC: D1C800F8 0205211F
	v_add3_u32 v248, v31, v248, v251                           // 000000009DE4: D1FF00F8 07EFF11F
	v_cndmask_b32_e64 v29, v248, v250, s[74:75]                // 000000009DEC: D100001D 012BF5F8
	v_and_or_b32 v78, v29, v249, v28                           // 000000009DF4: D201004E 0473F31D
	v_accvgpr_read_b32 v30, a222                               // 000000009DFC: D3D8401E 180001DE
	v_accvgpr_read_b32 v31, a223                               // 000000009E04: D3D8401F 180001DF
	v_mul_f32_e32 v30, s47, v30                                // 000000009E0C: 0A3C3C2F
	v_mul_f32_e32 v31, s47, v31                                // 000000009E10: 0A3E3E2F
	v_cmp_u_f32_e64 s[74:75], v30, v30                         // 000000009E14: D048004A 00023D1E
	v_bfe_u32 v248, v30, 16, 1                                 // 000000009E1C: D1C800F8 0205211E
	v_add3_u32 v248, v30, v248, v251                           // 000000009E24: D1FF00F8 07EFF11E
	v_cndmask_b32_e64 v28, v248, v250, s[74:75]                // 000000009E2C: D100001C 012BF5F8
	v_lshrrev_b32_e32 v28, 16, v28                             // 000000009E34: 20383890
	v_cmp_u_f32_e64 s[74:75], v31, v31                         // 000000009E38: D048004A 00023F1F
	v_bfe_u32 v248, v31, 16, 1                                 // 000000009E40: D1C800F8 0205211F
	v_add3_u32 v248, v31, v248, v251                           // 000000009E48: D1FF00F8 07EFF11F
	v_cndmask_b32_e64 v29, v248, v250, s[74:75]                // 000000009E50: D100001D 012BF5F8
	v_and_or_b32 v79, v29, v249, v28                           // 000000009E58: D201004F 0473F31D
	ds_write_b64 v25, v[64:65] offset:16896                    // 000000009E60: D89A4200 00004019
	ds_write_b64 v25, v[66:67] offset:17424                    // 000000009E68: D89A4410 00004219
	ds_write_b64 v25, v[68:69] offset:17952                    // 000000009E70: D89A4620 00004419
	ds_write_b64 v25, v[70:71] offset:18480                    // 000000009E78: D89A4830 00004619
	ds_write_b64 v25, v[72:73] offset:19008                    // 000000009E80: D89A4A40 00004819
	ds_write_b64 v25, v[74:75] offset:19536                    // 000000009E88: D89A4C50 00004A19
	ds_write_b64 v25, v[76:77] offset:20064                    // 000000009E90: D89A4E60 00004C19
	ds_write_b64 v25, v[78:79] offset:20592                    // 000000009E98: D89A5070 00004E19
	s_waitcnt lgkmcnt(0)                                       // 000000009EA0: BF8CC07F
	s_barrier                                                  // 000000009EA4: BF8A0000
	ds_read_b64 v[64:65], v24 offset:16896                     // 000000009EA8: D8EC4200 40000018
	ds_read_b64 v[66:67], v24 offset:17024                     // 000000009EB0: D8EC4280 42000018
	ds_read_b64 v[68:69], v24 offset:16928                     // 000000009EB8: D8EC4220 44000018
	ds_read_b64 v[70:71], v24 offset:17056                     // 000000009EC0: D8EC42A0 46000018
	ds_read_b64 v[72:73], v24 offset:16960                     // 000000009EC8: D8EC4240 48000018
	ds_read_b64 v[74:75], v24 offset:17088                     // 000000009ED0: D8EC42C0 4A000018
	ds_read_b64 v[76:77], v24 offset:16992                     // 000000009ED8: D8EC4260 4C000018
	ds_read_b64 v[78:79], v24 offset:17120                     // 000000009EE0: D8EC42E0 4E000018
	s_waitcnt lgkmcnt(0)                                       // 000000009EE8: BF8CC07F
	s_mov_b32 s70, s52                                         // 000000009EEC: BEC60034
	s_mov_b64 exec, s[88:89]                                   // 000000009EF0: BEFE0158
	buffer_store_dwordx4 v[64:67], v5, s[36:39], 0 idxen       // 000000009EF4: E07C2000 80094005
	s_mov_b64 exec, s[84:85]                                   // 000000009EFC: BEFE0154
	v_add_u32_e32 v5, s70, v5                                  // 000000009F00: 680A0A46
	s_mov_b64 exec, s[88:89]                                   // 000000009F04: BEFE0158
	buffer_store_dwordx4 v[68:71], v5, s[36:39], 0 idxen       // 000000009F08: E07C2000 80094405
	s_mov_b64 exec, s[84:85]                                   // 000000009F10: BEFE0154
	v_add_u32_e32 v5, s70, v5                                  // 000000009F14: 680A0A46
	s_mov_b64 exec, s[88:89]                                   // 000000009F18: BEFE0158
	buffer_store_dwordx4 v[72:75], v5, s[36:39], 0 idxen       // 000000009F1C: E07C2000 80094805
	s_mov_b64 exec, s[84:85]                                   // 000000009F24: BEFE0154
	v_add_u32_e32 v5, s70, v5                                  // 000000009F28: 680A0A46
	s_mov_b64 exec, s[88:89]                                   // 000000009F2C: BEFE0158
	buffer_store_dwordx4 v[76:79], v5, s[36:39], 0 idxen       // 000000009F30: E07C2000 80094C05
	s_mov_b64 exec, s[84:85]                                   // 000000009F38: BEFE0154
	v_add_u32_e32 v5, s70, v5                                  // 000000009F3C: 680A0A46
	s_mul_i32 s60, 12, s70                                     // 000000009F40: 923C468C
	v_add_u32_e32 v5, s60, v5                                  // 000000009F44: 680A0A3C
	s_barrier                                                  // 000000009F48: BF8A0000
	s_cmp_ge_i32 2, s73                                        // 000000009F4C: BF034982
	s_cbranch_scc1 label_1A36                                  // 000000009F50: BF8501CD
	v_accvgpr_read_b32 v30, a224                               // 000000009F54: D3D8401E 180001E0
	v_accvgpr_read_b32 v31, a225                               // 000000009F5C: D3D8401F 180001E1
	v_mul_f32_e32 v30, s47, v30                                // 000000009F64: 0A3C3C2F
	v_mul_f32_e32 v31, s47, v31                                // 000000009F68: 0A3E3E2F
	v_cmp_u_f32_e64 s[74:75], v30, v30                         // 000000009F6C: D048004A 00023D1E
	v_bfe_u32 v248, v30, 16, 1                                 // 000000009F74: D1C800F8 0205211E
	v_add3_u32 v248, v30, v248, v251                           // 000000009F7C: D1FF00F8 07EFF11E
	v_cndmask_b32_e64 v28, v248, v250, s[74:75]                // 000000009F84: D100001C 012BF5F8
	v_lshrrev_b32_e32 v28, 16, v28                             // 000000009F8C: 20383890
	v_cmp_u_f32_e64 s[74:75], v31, v31                         // 000000009F90: D048004A 00023F1F
	v_bfe_u32 v248, v31, 16, 1                                 // 000000009F98: D1C800F8 0205211F
	v_add3_u32 v248, v31, v248, v251                           // 000000009FA0: D1FF00F8 07EFF11F
	v_cndmask_b32_e64 v29, v248, v250, s[74:75]                // 000000009FA8: D100001D 012BF5F8
	v_and_or_b32 v80, v29, v249, v28                           // 000000009FB0: D2010050 0473F31D
	v_accvgpr_read_b32 v30, a226                               // 000000009FB8: D3D8401E 180001E2
	v_accvgpr_read_b32 v31, a227                               // 000000009FC0: D3D8401F 180001E3
	v_mul_f32_e32 v30, s47, v30                                // 000000009FC8: 0A3C3C2F
	v_mul_f32_e32 v31, s47, v31                                // 000000009FCC: 0A3E3E2F
	v_cmp_u_f32_e64 s[74:75], v30, v30                         // 000000009FD0: D048004A 00023D1E
	v_bfe_u32 v248, v30, 16, 1                                 // 000000009FD8: D1C800F8 0205211E
	v_add3_u32 v248, v30, v248, v251                           // 000000009FE0: D1FF00F8 07EFF11E
	v_cndmask_b32_e64 v28, v248, v250, s[74:75]                // 000000009FE8: D100001C 012BF5F8
	v_lshrrev_b32_e32 v28, 16, v28                             // 000000009FF0: 20383890
	v_cmp_u_f32_e64 s[74:75], v31, v31                         // 000000009FF4: D048004A 00023F1F
	v_bfe_u32 v248, v31, 16, 1                                 // 000000009FFC: D1C800F8 0205211F
	v_add3_u32 v248, v31, v248, v251                           // 00000000A004: D1FF00F8 07EFF11F
	v_cndmask_b32_e64 v29, v248, v250, s[74:75]                // 00000000A00C: D100001D 012BF5F8
	v_and_or_b32 v81, v29, v249, v28                           // 00000000A014: D2010051 0473F31D
	v_accvgpr_read_b32 v30, a228                               // 00000000A01C: D3D8401E 180001E4
	v_accvgpr_read_b32 v31, a229                               // 00000000A024: D3D8401F 180001E5
	v_mul_f32_e32 v30, s47, v30                                // 00000000A02C: 0A3C3C2F
	v_mul_f32_e32 v31, s47, v31                                // 00000000A030: 0A3E3E2F
	v_cmp_u_f32_e64 s[74:75], v30, v30                         // 00000000A034: D048004A 00023D1E
	v_bfe_u32 v248, v30, 16, 1                                 // 00000000A03C: D1C800F8 0205211E
	v_add3_u32 v248, v30, v248, v251                           // 00000000A044: D1FF00F8 07EFF11E
	v_cndmask_b32_e64 v28, v248, v250, s[74:75]                // 00000000A04C: D100001C 012BF5F8
	v_lshrrev_b32_e32 v28, 16, v28                             // 00000000A054: 20383890
	v_cmp_u_f32_e64 s[74:75], v31, v31                         // 00000000A058: D048004A 00023F1F
	v_bfe_u32 v248, v31, 16, 1                                 // 00000000A060: D1C800F8 0205211F
	v_add3_u32 v248, v31, v248, v251                           // 00000000A068: D1FF00F8 07EFF11F
	v_cndmask_b32_e64 v29, v248, v250, s[74:75]                // 00000000A070: D100001D 012BF5F8
	v_and_or_b32 v82, v29, v249, v28                           // 00000000A078: D2010052 0473F31D
	v_accvgpr_read_b32 v30, a230                               // 00000000A080: D3D8401E 180001E6
	v_accvgpr_read_b32 v31, a231                               // 00000000A088: D3D8401F 180001E7
	v_mul_f32_e32 v30, s47, v30                                // 00000000A090: 0A3C3C2F
	v_mul_f32_e32 v31, s47, v31                                // 00000000A094: 0A3E3E2F
	v_cmp_u_f32_e64 s[74:75], v30, v30                         // 00000000A098: D048004A 00023D1E
	v_bfe_u32 v248, v30, 16, 1                                 // 00000000A0A0: D1C800F8 0205211E
	v_add3_u32 v248, v30, v248, v251                           // 00000000A0A8: D1FF00F8 07EFF11E
	v_cndmask_b32_e64 v28, v248, v250, s[74:75]                // 00000000A0B0: D100001C 012BF5F8
	v_lshrrev_b32_e32 v28, 16, v28                             // 00000000A0B8: 20383890
	v_cmp_u_f32_e64 s[74:75], v31, v31                         // 00000000A0BC: D048004A 00023F1F
	v_bfe_u32 v248, v31, 16, 1                                 // 00000000A0C4: D1C800F8 0205211F
	v_add3_u32 v248, v31, v248, v251                           // 00000000A0CC: D1FF00F8 07EFF11F
	v_cndmask_b32_e64 v29, v248, v250, s[74:75]                // 00000000A0D4: D100001D 012BF5F8
	v_and_or_b32 v83, v29, v249, v28                           // 00000000A0DC: D2010053 0473F31D
	v_accvgpr_read_b32 v30, a232                               // 00000000A0E4: D3D8401E 180001E8
	v_accvgpr_read_b32 v31, a233                               // 00000000A0EC: D3D8401F 180001E9
	v_mul_f32_e32 v30, s47, v30                                // 00000000A0F4: 0A3C3C2F
	v_mul_f32_e32 v31, s47, v31                                // 00000000A0F8: 0A3E3E2F
	v_cmp_u_f32_e64 s[74:75], v30, v30                         // 00000000A0FC: D048004A 00023D1E
	v_bfe_u32 v248, v30, 16, 1                                 // 00000000A104: D1C800F8 0205211E
	v_add3_u32 v248, v30, v248, v251                           // 00000000A10C: D1FF00F8 07EFF11E
	v_cndmask_b32_e64 v28, v248, v250, s[74:75]                // 00000000A114: D100001C 012BF5F8
	v_lshrrev_b32_e32 v28, 16, v28                             // 00000000A11C: 20383890
	v_cmp_u_f32_e64 s[74:75], v31, v31                         // 00000000A120: D048004A 00023F1F
	v_bfe_u32 v248, v31, 16, 1                                 // 00000000A128: D1C800F8 0205211F
	v_add3_u32 v248, v31, v248, v251                           // 00000000A130: D1FF00F8 07EFF11F
	v_cndmask_b32_e64 v29, v248, v250, s[74:75]                // 00000000A138: D100001D 012BF5F8
	v_and_or_b32 v84, v29, v249, v28                           // 00000000A140: D2010054 0473F31D
	v_accvgpr_read_b32 v30, a234                               // 00000000A148: D3D8401E 180001EA
	v_accvgpr_read_b32 v31, a235                               // 00000000A150: D3D8401F 180001EB
	v_mul_f32_e32 v30, s47, v30                                // 00000000A158: 0A3C3C2F
	v_mul_f32_e32 v31, s47, v31                                // 00000000A15C: 0A3E3E2F
	v_cmp_u_f32_e64 s[74:75], v30, v30                         // 00000000A160: D048004A 00023D1E
	v_bfe_u32 v248, v30, 16, 1                                 // 00000000A168: D1C800F8 0205211E
	v_add3_u32 v248, v30, v248, v251                           // 00000000A170: D1FF00F8 07EFF11E
	v_cndmask_b32_e64 v28, v248, v250, s[74:75]                // 00000000A178: D100001C 012BF5F8
	v_lshrrev_b32_e32 v28, 16, v28                             // 00000000A180: 20383890
	v_cmp_u_f32_e64 s[74:75], v31, v31                         // 00000000A184: D048004A 00023F1F
	v_bfe_u32 v248, v31, 16, 1                                 // 00000000A18C: D1C800F8 0205211F
	v_add3_u32 v248, v31, v248, v251                           // 00000000A194: D1FF00F8 07EFF11F
	v_cndmask_b32_e64 v29, v248, v250, s[74:75]                // 00000000A19C: D100001D 012BF5F8
	v_and_or_b32 v85, v29, v249, v28                           // 00000000A1A4: D2010055 0473F31D
	v_accvgpr_read_b32 v30, a236                               // 00000000A1AC: D3D8401E 180001EC
	v_accvgpr_read_b32 v31, a237                               // 00000000A1B4: D3D8401F 180001ED
	v_mul_f32_e32 v30, s47, v30                                // 00000000A1BC: 0A3C3C2F
	v_mul_f32_e32 v31, s47, v31                                // 00000000A1C0: 0A3E3E2F
	v_cmp_u_f32_e64 s[74:75], v30, v30                         // 00000000A1C4: D048004A 00023D1E
	v_bfe_u32 v248, v30, 16, 1                                 // 00000000A1CC: D1C800F8 0205211E
	v_add3_u32 v248, v30, v248, v251                           // 00000000A1D4: D1FF00F8 07EFF11E
	v_cndmask_b32_e64 v28, v248, v250, s[74:75]                // 00000000A1DC: D100001C 012BF5F8
	v_lshrrev_b32_e32 v28, 16, v28                             // 00000000A1E4: 20383890
	v_cmp_u_f32_e64 s[74:75], v31, v31                         // 00000000A1E8: D048004A 00023F1F
	v_bfe_u32 v248, v31, 16, 1                                 // 00000000A1F0: D1C800F8 0205211F
	v_add3_u32 v248, v31, v248, v251                           // 00000000A1F8: D1FF00F8 07EFF11F
	v_cndmask_b32_e64 v29, v248, v250, s[74:75]                // 00000000A200: D100001D 012BF5F8
	v_and_or_b32 v86, v29, v249, v28                           // 00000000A208: D2010056 0473F31D
	v_accvgpr_read_b32 v30, a238                               // 00000000A210: D3D8401E 180001EE
	v_accvgpr_read_b32 v31, a239                               // 00000000A218: D3D8401F 180001EF
	v_mul_f32_e32 v30, s47, v30                                // 00000000A220: 0A3C3C2F
	v_mul_f32_e32 v31, s47, v31                                // 00000000A224: 0A3E3E2F
	v_cmp_u_f32_e64 s[74:75], v30, v30                         // 00000000A228: D048004A 00023D1E
	v_bfe_u32 v248, v30, 16, 1                                 // 00000000A230: D1C800F8 0205211E
	v_add3_u32 v248, v30, v248, v251                           // 00000000A238: D1FF00F8 07EFF11E
	v_cndmask_b32_e64 v28, v248, v250, s[74:75]                // 00000000A240: D100001C 012BF5F8
	v_lshrrev_b32_e32 v28, 16, v28                             // 00000000A248: 20383890
	v_cmp_u_f32_e64 s[74:75], v31, v31                         // 00000000A24C: D048004A 00023F1F
	v_bfe_u32 v248, v31, 16, 1                                 // 00000000A254: D1C800F8 0205211F
	v_add3_u32 v248, v31, v248, v251                           // 00000000A25C: D1FF00F8 07EFF11F
	v_cndmask_b32_e64 v29, v248, v250, s[74:75]                // 00000000A264: D100001D 012BF5F8
	v_and_or_b32 v87, v29, v249, v28                           // 00000000A26C: D2010057 0473F31D
	v_accvgpr_read_b32 v30, a240                               // 00000000A274: D3D8401E 180001F0
	v_accvgpr_read_b32 v31, a241                               // 00000000A27C: D3D8401F 180001F1
	v_mul_f32_e32 v30, s47, v30                                // 00000000A284: 0A3C3C2F
	v_mul_f32_e32 v31, s47, v31                                // 00000000A288: 0A3E3E2F
	v_cmp_u_f32_e64 s[74:75], v30, v30                         // 00000000A28C: D048004A 00023D1E
	v_bfe_u32 v248, v30, 16, 1                                 // 00000000A294: D1C800F8 0205211E
	v_add3_u32 v248, v30, v248, v251                           // 00000000A29C: D1FF00F8 07EFF11E
	v_cndmask_b32_e64 v28, v248, v250, s[74:75]                // 00000000A2A4: D100001C 012BF5F8
	v_lshrrev_b32_e32 v28, 16, v28                             // 00000000A2AC: 20383890
	v_cmp_u_f32_e64 s[74:75], v31, v31                         // 00000000A2B0: D048004A 00023F1F
	v_bfe_u32 v248, v31, 16, 1                                 // 00000000A2B8: D1C800F8 0205211F
	v_add3_u32 v248, v31, v248, v251                           // 00000000A2C0: D1FF00F8 07EFF11F
	v_cndmask_b32_e64 v29, v248, v250, s[74:75]                // 00000000A2C8: D100001D 012BF5F8
	v_and_or_b32 v88, v29, v249, v28                           // 00000000A2D0: D2010058 0473F31D
	v_accvgpr_read_b32 v30, a242                               // 00000000A2D8: D3D8401E 180001F2
	v_accvgpr_read_b32 v31, a243                               // 00000000A2E0: D3D8401F 180001F3
	v_mul_f32_e32 v30, s47, v30                                // 00000000A2E8: 0A3C3C2F
	v_mul_f32_e32 v31, s47, v31                                // 00000000A2EC: 0A3E3E2F
	v_cmp_u_f32_e64 s[74:75], v30, v30                         // 00000000A2F0: D048004A 00023D1E
	v_bfe_u32 v248, v30, 16, 1                                 // 00000000A2F8: D1C800F8 0205211E
	v_add3_u32 v248, v30, v248, v251                           // 00000000A300: D1FF00F8 07EFF11E
	v_cndmask_b32_e64 v28, v248, v250, s[74:75]                // 00000000A308: D100001C 012BF5F8
	v_lshrrev_b32_e32 v28, 16, v28                             // 00000000A310: 20383890
	v_cmp_u_f32_e64 s[74:75], v31, v31                         // 00000000A314: D048004A 00023F1F
	v_bfe_u32 v248, v31, 16, 1                                 // 00000000A31C: D1C800F8 0205211F
	v_add3_u32 v248, v31, v248, v251                           // 00000000A324: D1FF00F8 07EFF11F
	v_cndmask_b32_e64 v29, v248, v250, s[74:75]                // 00000000A32C: D100001D 012BF5F8
	v_and_or_b32 v89, v29, v249, v28                           // 00000000A334: D2010059 0473F31D
	v_accvgpr_read_b32 v30, a244                               // 00000000A33C: D3D8401E 180001F4
	v_accvgpr_read_b32 v31, a245                               // 00000000A344: D3D8401F 180001F5
	v_mul_f32_e32 v30, s47, v30                                // 00000000A34C: 0A3C3C2F
	v_mul_f32_e32 v31, s47, v31                                // 00000000A350: 0A3E3E2F
	v_cmp_u_f32_e64 s[74:75], v30, v30                         // 00000000A354: D048004A 00023D1E
	v_bfe_u32 v248, v30, 16, 1                                 // 00000000A35C: D1C800F8 0205211E
	v_add3_u32 v248, v30, v248, v251                           // 00000000A364: D1FF00F8 07EFF11E
	v_cndmask_b32_e64 v28, v248, v250, s[74:75]                // 00000000A36C: D100001C 012BF5F8
	v_lshrrev_b32_e32 v28, 16, v28                             // 00000000A374: 20383890
	v_cmp_u_f32_e64 s[74:75], v31, v31                         // 00000000A378: D048004A 00023F1F
	v_bfe_u32 v248, v31, 16, 1                                 // 00000000A380: D1C800F8 0205211F
	v_add3_u32 v248, v31, v248, v251                           // 00000000A388: D1FF00F8 07EFF11F
	v_cndmask_b32_e64 v29, v248, v250, s[74:75]                // 00000000A390: D100001D 012BF5F8
	v_and_or_b32 v90, v29, v249, v28                           // 00000000A398: D201005A 0473F31D
	v_accvgpr_read_b32 v30, a246                               // 00000000A3A0: D3D8401E 180001F6
	v_accvgpr_read_b32 v31, a247                               // 00000000A3A8: D3D8401F 180001F7
	v_mul_f32_e32 v30, s47, v30                                // 00000000A3B0: 0A3C3C2F
	v_mul_f32_e32 v31, s47, v31                                // 00000000A3B4: 0A3E3E2F
	v_cmp_u_f32_e64 s[74:75], v30, v30                         // 00000000A3B8: D048004A 00023D1E
	v_bfe_u32 v248, v30, 16, 1                                 // 00000000A3C0: D1C800F8 0205211E
	v_add3_u32 v248, v30, v248, v251                           // 00000000A3C8: D1FF00F8 07EFF11E
	v_cndmask_b32_e64 v28, v248, v250, s[74:75]                // 00000000A3D0: D100001C 012BF5F8
	v_lshrrev_b32_e32 v28, 16, v28                             // 00000000A3D8: 20383890
	v_cmp_u_f32_e64 s[74:75], v31, v31                         // 00000000A3DC: D048004A 00023F1F
	v_bfe_u32 v248, v31, 16, 1                                 // 00000000A3E4: D1C800F8 0205211F
	v_add3_u32 v248, v31, v248, v251                           // 00000000A3EC: D1FF00F8 07EFF11F
	v_cndmask_b32_e64 v29, v248, v250, s[74:75]                // 00000000A3F4: D100001D 012BF5F8
	v_and_or_b32 v91, v29, v249, v28                           // 00000000A3FC: D201005B 0473F31D
	v_accvgpr_read_b32 v30, a248                               // 00000000A404: D3D8401E 180001F8
	v_accvgpr_read_b32 v31, a249                               // 00000000A40C: D3D8401F 180001F9
	v_mul_f32_e32 v30, s47, v30                                // 00000000A414: 0A3C3C2F
	v_mul_f32_e32 v31, s47, v31                                // 00000000A418: 0A3E3E2F
	v_cmp_u_f32_e64 s[74:75], v30, v30                         // 00000000A41C: D048004A 00023D1E
	v_bfe_u32 v248, v30, 16, 1                                 // 00000000A424: D1C800F8 0205211E
	v_add3_u32 v248, v30, v248, v251                           // 00000000A42C: D1FF00F8 07EFF11E
	v_cndmask_b32_e64 v28, v248, v250, s[74:75]                // 00000000A434: D100001C 012BF5F8
	v_lshrrev_b32_e32 v28, 16, v28                             // 00000000A43C: 20383890
	v_cmp_u_f32_e64 s[74:75], v31, v31                         // 00000000A440: D048004A 00023F1F
	v_bfe_u32 v248, v31, 16, 1                                 // 00000000A448: D1C800F8 0205211F
	v_add3_u32 v248, v31, v248, v251                           // 00000000A450: D1FF00F8 07EFF11F
	v_cndmask_b32_e64 v29, v248, v250, s[74:75]                // 00000000A458: D100001D 012BF5F8
	v_and_or_b32 v92, v29, v249, v28                           // 00000000A460: D201005C 0473F31D
	v_accvgpr_read_b32 v30, a250                               // 00000000A468: D3D8401E 180001FA
	v_accvgpr_read_b32 v31, a251                               // 00000000A470: D3D8401F 180001FB
	v_mul_f32_e32 v30, s47, v30                                // 00000000A478: 0A3C3C2F
	v_mul_f32_e32 v31, s47, v31                                // 00000000A47C: 0A3E3E2F
	v_cmp_u_f32_e64 s[74:75], v30, v30                         // 00000000A480: D048004A 00023D1E
	v_bfe_u32 v248, v30, 16, 1                                 // 00000000A488: D1C800F8 0205211E
	v_add3_u32 v248, v30, v248, v251                           // 00000000A490: D1FF00F8 07EFF11E
	v_cndmask_b32_e64 v28, v248, v250, s[74:75]                // 00000000A498: D100001C 012BF5F8
	v_lshrrev_b32_e32 v28, 16, v28                             // 00000000A4A0: 20383890
	v_cmp_u_f32_e64 s[74:75], v31, v31                         // 00000000A4A4: D048004A 00023F1F
	v_bfe_u32 v248, v31, 16, 1                                 // 00000000A4AC: D1C800F8 0205211F
	v_add3_u32 v248, v31, v248, v251                           // 00000000A4B4: D1FF00F8 07EFF11F
	v_cndmask_b32_e64 v29, v248, v250, s[74:75]                // 00000000A4BC: D100001D 012BF5F8
	v_and_or_b32 v93, v29, v249, v28                           // 00000000A4C4: D201005D 0473F31D
	v_accvgpr_read_b32 v30, a252                               // 00000000A4CC: D3D8401E 180001FC
	v_accvgpr_read_b32 v31, a253                               // 00000000A4D4: D3D8401F 180001FD
	v_mul_f32_e32 v30, s47, v30                                // 00000000A4DC: 0A3C3C2F
	v_mul_f32_e32 v31, s47, v31                                // 00000000A4E0: 0A3E3E2F
	v_cmp_u_f32_e64 s[74:75], v30, v30                         // 00000000A4E4: D048004A 00023D1E
	v_bfe_u32 v248, v30, 16, 1                                 // 00000000A4EC: D1C800F8 0205211E
	v_add3_u32 v248, v30, v248, v251                           // 00000000A4F4: D1FF00F8 07EFF11E
	v_cndmask_b32_e64 v28, v248, v250, s[74:75]                // 00000000A4FC: D100001C 012BF5F8
	v_lshrrev_b32_e32 v28, 16, v28                             // 00000000A504: 20383890
	v_cmp_u_f32_e64 s[74:75], v31, v31                         // 00000000A508: D048004A 00023F1F
	v_bfe_u32 v248, v31, 16, 1                                 // 00000000A510: D1C800F8 0205211F
	v_add3_u32 v248, v31, v248, v251                           // 00000000A518: D1FF00F8 07EFF11F
	v_cndmask_b32_e64 v29, v248, v250, s[74:75]                // 00000000A520: D100001D 012BF5F8
	v_and_or_b32 v94, v29, v249, v28                           // 00000000A528: D201005E 0473F31D
	v_accvgpr_read_b32 v30, a254                               // 00000000A530: D3D8401E 180001FE
	v_accvgpr_read_b32 v31, a255                               // 00000000A538: D3D8401F 180001FF
	v_mul_f32_e32 v30, s47, v30                                // 00000000A540: 0A3C3C2F
	v_mul_f32_e32 v31, s47, v31                                // 00000000A544: 0A3E3E2F
	v_cmp_u_f32_e64 s[74:75], v30, v30                         // 00000000A548: D048004A 00023D1E
	v_bfe_u32 v248, v30, 16, 1                                 // 00000000A550: D1C800F8 0205211E
	v_add3_u32 v248, v30, v248, v251                           // 00000000A558: D1FF00F8 07EFF11E
	v_cndmask_b32_e64 v28, v248, v250, s[74:75]                // 00000000A560: D100001C 012BF5F8
	v_lshrrev_b32_e32 v28, 16, v28                             // 00000000A568: 20383890
	v_cmp_u_f32_e64 s[74:75], v31, v31                         // 00000000A56C: D048004A 00023F1F
	v_bfe_u32 v248, v31, 16, 1                                 // 00000000A574: D1C800F8 0205211F
	v_add3_u32 v248, v31, v248, v251                           // 00000000A57C: D1FF00F8 07EFF11F
	v_cndmask_b32_e64 v29, v248, v250, s[74:75]                // 00000000A584: D100001D 012BF5F8
	v_and_or_b32 v95, v29, v249, v28                           // 00000000A58C: D201005F 0473F31D
	ds_write_b64 v25, v[80:81] offset:33792                    // 00000000A594: D89A8400 00005019
	ds_write_b64 v25, v[82:83] offset:34320                    // 00000000A59C: D89A8610 00005219
	ds_write_b64 v25, v[84:85] offset:34848                    // 00000000A5A4: D89A8820 00005419
	ds_write_b64 v25, v[86:87] offset:35376                    // 00000000A5AC: D89A8A30 00005619
	ds_write_b64 v25, v[88:89] offset:35904                    // 00000000A5B4: D89A8C40 00005819
	ds_write_b64 v25, v[90:91] offset:36432                    // 00000000A5BC: D89A8E50 00005A19
	ds_write_b64 v25, v[92:93] offset:36960                    // 00000000A5C4: D89A9060 00005C19
	ds_write_b64 v25, v[94:95] offset:37488                    // 00000000A5CC: D89A9270 00005E19
	s_waitcnt lgkmcnt(0)                                       // 00000000A5D4: BF8CC07F
	s_barrier                                                  // 00000000A5D8: BF8A0000
	ds_read_b64 v[80:81], v24 offset:33792                     // 00000000A5DC: D8EC8400 50000018
	ds_read_b64 v[82:83], v24 offset:33920                     // 00000000A5E4: D8EC8480 52000018
	ds_read_b64 v[84:85], v24 offset:33824                     // 00000000A5EC: D8EC8420 54000018
	ds_read_b64 v[86:87], v24 offset:33952                     // 00000000A5F4: D8EC84A0 56000018
	ds_read_b64 v[88:89], v24 offset:33856                     // 00000000A5FC: D8EC8440 58000018
	ds_read_b64 v[90:91], v24 offset:33984                     // 00000000A604: D8EC84C0 5A000018
	ds_read_b64 v[92:93], v24 offset:33888                     // 00000000A60C: D8EC8460 5C000018
	ds_read_b64 v[94:95], v24 offset:34016                     // 00000000A614: D8EC84E0 5E000018
	s_waitcnt lgkmcnt(0)                                       // 00000000A61C: BF8CC07F
	s_mov_b32 s70, s52                                         // 00000000A620: BEC60034
	s_mov_b64 exec, s[88:89]                                   // 00000000A624: BEFE0158
	buffer_store_dwordx4 v[80:83], v5, s[36:39], 0 idxen       // 00000000A628: E07C2000 80095005
	s_mov_b64 exec, s[84:85]                                   // 00000000A630: BEFE0154
	v_add_u32_e32 v5, s70, v5                                  // 00000000A634: 680A0A46
	s_mov_b64 exec, s[88:89]                                   // 00000000A638: BEFE0158
	buffer_store_dwordx4 v[84:87], v5, s[36:39], 0 idxen       // 00000000A63C: E07C2000 80095405
	s_mov_b64 exec, s[84:85]                                   // 00000000A644: BEFE0154
	v_add_u32_e32 v5, s70, v5                                  // 00000000A648: 680A0A46
	s_mov_b64 exec, s[88:89]                                   // 00000000A64C: BEFE0158
	buffer_store_dwordx4 v[88:91], v5, s[36:39], 0 idxen       // 00000000A650: E07C2000 80095805
	s_mov_b64 exec, s[84:85]                                   // 00000000A658: BEFE0154
	v_add_u32_e32 v5, s70, v5                                  // 00000000A65C: 680A0A46
	s_mov_b64 exec, s[88:89]                                   // 00000000A660: BEFE0158
	buffer_store_dwordx4 v[92:95], v5, s[36:39], 0 idxen       // 00000000A664: E07C2000 80095C05
	s_mov_b64 exec, s[84:85]                                   // 00000000A66C: BEFE0154
	v_add_u32_e32 v5, s70, v5                                  // 00000000A670: 680A0A46
	s_mul_i32 s60, 12, s70                                     // 00000000A674: 923C468C
	v_add_u32_e32 v5, s60, v5                                  // 00000000A678: 680A0A3C
	s_barrier                                                  // 00000000A67C: BF8A0000
	s_cmp_ge_i32 3, s73                                        // 00000000A680: BF034983
	s_cbranch_scc1 label_1A36                                  // 00000000A684: BF850000

000000000000a688 <label_1A36>:
	v_mov_b32_e32 v30, v152                                    // 00000000A688: 7E3C0398
	v_mov_b32_e32 v31, v153                                    // 00000000A68C: 7E3E0399
	v_cmp_u_f32_e64 s[74:75], v30, v30                         // 00000000A690: D048004A 00023D1E
	v_bfe_u32 v248, v30, 16, 1                                 // 00000000A698: D1C800F8 0205211E
	v_add3_u32 v248, v30, v248, v251                           // 00000000A6A0: D1FF00F8 07EFF11E
	v_cndmask_b32_e64 v28, v248, v250, s[74:75]                // 00000000A6A8: D100001C 012BF5F8
	v_lshrrev_b32_e32 v28, 16, v28                             // 00000000A6B0: 20383890
	v_cmp_u_f32_e64 s[74:75], v31, v31                         // 00000000A6B4: D048004A 00023F1F
	v_bfe_u32 v248, v31, 16, 1                                 // 00000000A6BC: D1C800F8 0205211F
	v_add3_u32 v248, v31, v248, v251                           // 00000000A6C4: D1FF00F8 07EFF11F
	v_cndmask_b32_e64 v29, v248, v250, s[74:75]                // 00000000A6CC: D100001D 012BF5F8
	v_and_or_b32 v152, v29, v249, v28                          // 00000000A6D4: D2010098 0473F31D
	v_mov_b32_e32 v30, v154                                    // 00000000A6DC: 7E3C039A
	v_mov_b32_e32 v31, v155                                    // 00000000A6E0: 7E3E039B
	v_cmp_u_f32_e64 s[74:75], v30, v30                         // 00000000A6E4: D048004A 00023D1E
	v_bfe_u32 v248, v30, 16, 1                                 // 00000000A6EC: D1C800F8 0205211E
	v_add3_u32 v248, v30, v248, v251                           // 00000000A6F4: D1FF00F8 07EFF11E
	v_cndmask_b32_e64 v28, v248, v250, s[74:75]                // 00000000A6FC: D100001C 012BF5F8
	v_lshrrev_b32_e32 v28, 16, v28                             // 00000000A704: 20383890
	v_cmp_u_f32_e64 s[74:75], v31, v31                         // 00000000A708: D048004A 00023F1F
	v_bfe_u32 v248, v31, 16, 1                                 // 00000000A710: D1C800F8 0205211F
	v_add3_u32 v248, v31, v248, v251                           // 00000000A718: D1FF00F8 07EFF11F
	v_cndmask_b32_e64 v29, v248, v250, s[74:75]                // 00000000A720: D100001D 012BF5F8
	v_and_or_b32 v153, v29, v249, v28                          // 00000000A728: D2010099 0473F31D
	v_mov_b32_e32 v30, v156                                    // 00000000A730: 7E3C039C
	v_mov_b32_e32 v31, v157                                    // 00000000A734: 7E3E039D
	v_cmp_u_f32_e64 s[74:75], v30, v30                         // 00000000A738: D048004A 00023D1E
	v_bfe_u32 v248, v30, 16, 1                                 // 00000000A740: D1C800F8 0205211E
	v_add3_u32 v248, v30, v248, v251                           // 00000000A748: D1FF00F8 07EFF11E
	v_cndmask_b32_e64 v28, v248, v250, s[74:75]                // 00000000A750: D100001C 012BF5F8
	v_lshrrev_b32_e32 v28, 16, v28                             // 00000000A758: 20383890
	v_cmp_u_f32_e64 s[74:75], v31, v31                         // 00000000A75C: D048004A 00023F1F
	v_bfe_u32 v248, v31, 16, 1                                 // 00000000A764: D1C800F8 0205211F
	v_add3_u32 v248, v31, v248, v251                           // 00000000A76C: D1FF00F8 07EFF11F
	v_cndmask_b32_e64 v29, v248, v250, s[74:75]                // 00000000A774: D100001D 012BF5F8
	v_and_or_b32 v154, v29, v249, v28                          // 00000000A77C: D201009A 0473F31D
	v_mov_b32_e32 v30, v158                                    // 00000000A784: 7E3C039E
	v_mov_b32_e32 v31, v159                                    // 00000000A788: 7E3E039F
	v_cmp_u_f32_e64 s[74:75], v30, v30                         // 00000000A78C: D048004A 00023D1E
	v_bfe_u32 v248, v30, 16, 1                                 // 00000000A794: D1C800F8 0205211E
	v_add3_u32 v248, v30, v248, v251                           // 00000000A79C: D1FF00F8 07EFF11E
	v_cndmask_b32_e64 v28, v248, v250, s[74:75]                // 00000000A7A4: D100001C 012BF5F8
	v_lshrrev_b32_e32 v28, 16, v28                             // 00000000A7AC: 20383890
	v_cmp_u_f32_e64 s[74:75], v31, v31                         // 00000000A7B0: D048004A 00023F1F
	v_bfe_u32 v248, v31, 16, 1                                 // 00000000A7B8: D1C800F8 0205211F
	v_add3_u32 v248, v31, v248, v251                           // 00000000A7C0: D1FF00F8 07EFF11F
	v_cndmask_b32_e64 v29, v248, v250, s[74:75]                // 00000000A7C8: D100001D 012BF5F8
	v_and_or_b32 v155, v29, v249, v28                          // 00000000A7D0: D201009B 0473F31D
	v_mov_b32_e32 v30, v160                                    // 00000000A7D8: 7E3C03A0
	v_mov_b32_e32 v31, v161                                    // 00000000A7DC: 7E3E03A1
	v_cmp_u_f32_e64 s[74:75], v30, v30                         // 00000000A7E0: D048004A 00023D1E
	v_bfe_u32 v248, v30, 16, 1                                 // 00000000A7E8: D1C800F8 0205211E
	v_add3_u32 v248, v30, v248, v251                           // 00000000A7F0: D1FF00F8 07EFF11E
	v_cndmask_b32_e64 v28, v248, v250, s[74:75]                // 00000000A7F8: D100001C 012BF5F8
	v_lshrrev_b32_e32 v28, 16, v28                             // 00000000A800: 20383890
	v_cmp_u_f32_e64 s[74:75], v31, v31                         // 00000000A804: D048004A 00023F1F
	v_bfe_u32 v248, v31, 16, 1                                 // 00000000A80C: D1C800F8 0205211F
	v_add3_u32 v248, v31, v248, v251                           // 00000000A814: D1FF00F8 07EFF11F
	v_cndmask_b32_e64 v29, v248, v250, s[74:75]                // 00000000A81C: D100001D 012BF5F8
	v_and_or_b32 v156, v29, v249, v28                          // 00000000A824: D201009C 0473F31D
	v_mov_b32_e32 v30, v162                                    // 00000000A82C: 7E3C03A2
	v_mov_b32_e32 v31, v163                                    // 00000000A830: 7E3E03A3
	v_cmp_u_f32_e64 s[74:75], v30, v30                         // 00000000A834: D048004A 00023D1E
	v_bfe_u32 v248, v30, 16, 1                                 // 00000000A83C: D1C800F8 0205211E
	v_add3_u32 v248, v30, v248, v251                           // 00000000A844: D1FF00F8 07EFF11E
	v_cndmask_b32_e64 v28, v248, v250, s[74:75]                // 00000000A84C: D100001C 012BF5F8
	v_lshrrev_b32_e32 v28, 16, v28                             // 00000000A854: 20383890
	v_cmp_u_f32_e64 s[74:75], v31, v31                         // 00000000A858: D048004A 00023F1F
	v_bfe_u32 v248, v31, 16, 1                                 // 00000000A860: D1C800F8 0205211F
	v_add3_u32 v248, v31, v248, v251                           // 00000000A868: D1FF00F8 07EFF11F
	v_cndmask_b32_e64 v29, v248, v250, s[74:75]                // 00000000A870: D100001D 012BF5F8
	v_and_or_b32 v157, v29, v249, v28                          // 00000000A878: D201009D 0473F31D
	v_mov_b32_e32 v30, v164                                    // 00000000A880: 7E3C03A4
	v_mov_b32_e32 v31, v165                                    // 00000000A884: 7E3E03A5
	v_cmp_u_f32_e64 s[74:75], v30, v30                         // 00000000A888: D048004A 00023D1E
	v_bfe_u32 v248, v30, 16, 1                                 // 00000000A890: D1C800F8 0205211E
	v_add3_u32 v248, v30, v248, v251                           // 00000000A898: D1FF00F8 07EFF11E
	v_cndmask_b32_e64 v28, v248, v250, s[74:75]                // 00000000A8A0: D100001C 012BF5F8
	v_lshrrev_b32_e32 v28, 16, v28                             // 00000000A8A8: 20383890
	v_cmp_u_f32_e64 s[74:75], v31, v31                         // 00000000A8AC: D048004A 00023F1F
	v_bfe_u32 v248, v31, 16, 1                                 // 00000000A8B4: D1C800F8 0205211F
	v_add3_u32 v248, v31, v248, v251                           // 00000000A8BC: D1FF00F8 07EFF11F
	v_cndmask_b32_e64 v29, v248, v250, s[74:75]                // 00000000A8C4: D100001D 012BF5F8
	v_and_or_b32 v158, v29, v249, v28                          // 00000000A8CC: D201009E 0473F31D
	v_mov_b32_e32 v30, v166                                    // 00000000A8D4: 7E3C03A6
	v_mov_b32_e32 v31, v167                                    // 00000000A8D8: 7E3E03A7
	v_cmp_u_f32_e64 s[74:75], v30, v30                         // 00000000A8DC: D048004A 00023D1E
	v_bfe_u32 v248, v30, 16, 1                                 // 00000000A8E4: D1C800F8 0205211E
	v_add3_u32 v248, v30, v248, v251                           // 00000000A8EC: D1FF00F8 07EFF11E
	v_cndmask_b32_e64 v28, v248, v250, s[74:75]                // 00000000A8F4: D100001C 012BF5F8
	v_lshrrev_b32_e32 v28, 16, v28                             // 00000000A8FC: 20383890
	v_cmp_u_f32_e64 s[74:75], v31, v31                         // 00000000A900: D048004A 00023F1F
	v_bfe_u32 v248, v31, 16, 1                                 // 00000000A908: D1C800F8 0205211F
	v_add3_u32 v248, v31, v248, v251                           // 00000000A910: D1FF00F8 07EFF11F
	v_cndmask_b32_e64 v29, v248, v250, s[74:75]                // 00000000A918: D100001D 012BF5F8
	v_and_or_b32 v159, v29, v249, v28                          // 00000000A920: D201009F 0473F31D
	v_mov_b32_e32 v30, v168                                    // 00000000A928: 7E3C03A8
	v_mov_b32_e32 v31, v169                                    // 00000000A92C: 7E3E03A9
	v_cmp_u_f32_e64 s[74:75], v30, v30                         // 00000000A930: D048004A 00023D1E
	v_bfe_u32 v248, v30, 16, 1                                 // 00000000A938: D1C800F8 0205211E
	v_add3_u32 v248, v30, v248, v251                           // 00000000A940: D1FF00F8 07EFF11E
	v_cndmask_b32_e64 v28, v248, v250, s[74:75]                // 00000000A948: D100001C 012BF5F8
	v_lshrrev_b32_e32 v28, 16, v28                             // 00000000A950: 20383890
	v_cmp_u_f32_e64 s[74:75], v31, v31                         // 00000000A954: D048004A 00023F1F
	v_bfe_u32 v248, v31, 16, 1                                 // 00000000A95C: D1C800F8 0205211F
	v_add3_u32 v248, v31, v248, v251                           // 00000000A964: D1FF00F8 07EFF11F
	v_cndmask_b32_e64 v29, v248, v250, s[74:75]                // 00000000A96C: D100001D 012BF5F8
	v_and_or_b32 v160, v29, v249, v28                          // 00000000A974: D20100A0 0473F31D
	v_mov_b32_e32 v30, v170                                    // 00000000A97C: 7E3C03AA
	v_mov_b32_e32 v31, v171                                    // 00000000A980: 7E3E03AB
	v_cmp_u_f32_e64 s[74:75], v30, v30                         // 00000000A984: D048004A 00023D1E
	v_bfe_u32 v248, v30, 16, 1                                 // 00000000A98C: D1C800F8 0205211E
	v_add3_u32 v248, v30, v248, v251                           // 00000000A994: D1FF00F8 07EFF11E
	v_cndmask_b32_e64 v28, v248, v250, s[74:75]                // 00000000A99C: D100001C 012BF5F8
	v_lshrrev_b32_e32 v28, 16, v28                             // 00000000A9A4: 20383890
	v_cmp_u_f32_e64 s[74:75], v31, v31                         // 00000000A9A8: D048004A 00023F1F
	v_bfe_u32 v248, v31, 16, 1                                 // 00000000A9B0: D1C800F8 0205211F
	v_add3_u32 v248, v31, v248, v251                           // 00000000A9B8: D1FF00F8 07EFF11F
	v_cndmask_b32_e64 v29, v248, v250, s[74:75]                // 00000000A9C0: D100001D 012BF5F8
	v_and_or_b32 v161, v29, v249, v28                          // 00000000A9C8: D20100A1 0473F31D
	v_mov_b32_e32 v30, v172                                    // 00000000A9D0: 7E3C03AC
	v_mov_b32_e32 v31, v173                                    // 00000000A9D4: 7E3E03AD
	v_cmp_u_f32_e64 s[74:75], v30, v30                         // 00000000A9D8: D048004A 00023D1E
	v_bfe_u32 v248, v30, 16, 1                                 // 00000000A9E0: D1C800F8 0205211E
	v_add3_u32 v248, v30, v248, v251                           // 00000000A9E8: D1FF00F8 07EFF11E
	v_cndmask_b32_e64 v28, v248, v250, s[74:75]                // 00000000A9F0: D100001C 012BF5F8
	v_lshrrev_b32_e32 v28, 16, v28                             // 00000000A9F8: 20383890
	v_cmp_u_f32_e64 s[74:75], v31, v31                         // 00000000A9FC: D048004A 00023F1F
	v_bfe_u32 v248, v31, 16, 1                                 // 00000000AA04: D1C800F8 0205211F
	v_add3_u32 v248, v31, v248, v251                           // 00000000AA0C: D1FF00F8 07EFF11F
	v_cndmask_b32_e64 v29, v248, v250, s[74:75]                // 00000000AA14: D100001D 012BF5F8
	v_and_or_b32 v162, v29, v249, v28                          // 00000000AA1C: D20100A2 0473F31D
	v_mov_b32_e32 v30, v174                                    // 00000000AA24: 7E3C03AE
	v_mov_b32_e32 v31, v175                                    // 00000000AA28: 7E3E03AF
	v_cmp_u_f32_e64 s[74:75], v30, v30                         // 00000000AA2C: D048004A 00023D1E
	v_bfe_u32 v248, v30, 16, 1                                 // 00000000AA34: D1C800F8 0205211E
	v_add3_u32 v248, v30, v248, v251                           // 00000000AA3C: D1FF00F8 07EFF11E
	v_cndmask_b32_e64 v28, v248, v250, s[74:75]                // 00000000AA44: D100001C 012BF5F8
	v_lshrrev_b32_e32 v28, 16, v28                             // 00000000AA4C: 20383890
	v_cmp_u_f32_e64 s[74:75], v31, v31                         // 00000000AA50: D048004A 00023F1F
	v_bfe_u32 v248, v31, 16, 1                                 // 00000000AA58: D1C800F8 0205211F
	v_add3_u32 v248, v31, v248, v251                           // 00000000AA60: D1FF00F8 07EFF11F
	v_cndmask_b32_e64 v29, v248, v250, s[74:75]                // 00000000AA68: D100001D 012BF5F8
	v_and_or_b32 v163, v29, v249, v28                          // 00000000AA70: D20100A3 0473F31D
	v_mov_b32_e32 v30, v176                                    // 00000000AA78: 7E3C03B0
	v_mov_b32_e32 v31, v177                                    // 00000000AA7C: 7E3E03B1
	v_cmp_u_f32_e64 s[74:75], v30, v30                         // 00000000AA80: D048004A 00023D1E
	v_bfe_u32 v248, v30, 16, 1                                 // 00000000AA88: D1C800F8 0205211E
	v_add3_u32 v248, v30, v248, v251                           // 00000000AA90: D1FF00F8 07EFF11E
	v_cndmask_b32_e64 v28, v248, v250, s[74:75]                // 00000000AA98: D100001C 012BF5F8
	v_lshrrev_b32_e32 v28, 16, v28                             // 00000000AAA0: 20383890
	v_cmp_u_f32_e64 s[74:75], v31, v31                         // 00000000AAA4: D048004A 00023F1F
	v_bfe_u32 v248, v31, 16, 1                                 // 00000000AAAC: D1C800F8 0205211F
	v_add3_u32 v248, v31, v248, v251                           // 00000000AAB4: D1FF00F8 07EFF11F
	v_cndmask_b32_e64 v29, v248, v250, s[74:75]                // 00000000AABC: D100001D 012BF5F8
	v_and_or_b32 v164, v29, v249, v28                          // 00000000AAC4: D20100A4 0473F31D
	v_mov_b32_e32 v30, v178                                    // 00000000AACC: 7E3C03B2
	v_mov_b32_e32 v31, v179                                    // 00000000AAD0: 7E3E03B3
	v_cmp_u_f32_e64 s[74:75], v30, v30                         // 00000000AAD4: D048004A 00023D1E
	v_bfe_u32 v248, v30, 16, 1                                 // 00000000AADC: D1C800F8 0205211E
	v_add3_u32 v248, v30, v248, v251                           // 00000000AAE4: D1FF00F8 07EFF11E
	v_cndmask_b32_e64 v28, v248, v250, s[74:75]                // 00000000AAEC: D100001C 012BF5F8
	v_lshrrev_b32_e32 v28, 16, v28                             // 00000000AAF4: 20383890
	v_cmp_u_f32_e64 s[74:75], v31, v31                         // 00000000AAF8: D048004A 00023F1F
	v_bfe_u32 v248, v31, 16, 1                                 // 00000000AB00: D1C800F8 0205211F
	v_add3_u32 v248, v31, v248, v251                           // 00000000AB08: D1FF00F8 07EFF11F
	v_cndmask_b32_e64 v29, v248, v250, s[74:75]                // 00000000AB10: D100001D 012BF5F8
	v_and_or_b32 v165, v29, v249, v28                          // 00000000AB18: D20100A5 0473F31D
	v_mov_b32_e32 v30, v180                                    // 00000000AB20: 7E3C03B4
	v_mov_b32_e32 v31, v181                                    // 00000000AB24: 7E3E03B5
	v_cmp_u_f32_e64 s[74:75], v30, v30                         // 00000000AB28: D048004A 00023D1E
	v_bfe_u32 v248, v30, 16, 1                                 // 00000000AB30: D1C800F8 0205211E
	v_add3_u32 v248, v30, v248, v251                           // 00000000AB38: D1FF00F8 07EFF11E
	v_cndmask_b32_e64 v28, v248, v250, s[74:75]                // 00000000AB40: D100001C 012BF5F8
	v_lshrrev_b32_e32 v28, 16, v28                             // 00000000AB48: 20383890
	v_cmp_u_f32_e64 s[74:75], v31, v31                         // 00000000AB4C: D048004A 00023F1F
	v_bfe_u32 v248, v31, 16, 1                                 // 00000000AB54: D1C800F8 0205211F
	v_add3_u32 v248, v31, v248, v251                           // 00000000AB5C: D1FF00F8 07EFF11F
	v_cndmask_b32_e64 v29, v248, v250, s[74:75]                // 00000000AB64: D100001D 012BF5F8
	v_and_or_b32 v166, v29, v249, v28                          // 00000000AB6C: D20100A6 0473F31D
	v_mov_b32_e32 v30, v182                                    // 00000000AB74: 7E3C03B6
	v_mov_b32_e32 v31, v183                                    // 00000000AB78: 7E3E03B7
	v_cmp_u_f32_e64 s[74:75], v30, v30                         // 00000000AB7C: D048004A 00023D1E
	v_bfe_u32 v248, v30, 16, 1                                 // 00000000AB84: D1C800F8 0205211E
	v_add3_u32 v248, v30, v248, v251                           // 00000000AB8C: D1FF00F8 07EFF11E
	v_cndmask_b32_e64 v28, v248, v250, s[74:75]                // 00000000AB94: D100001C 012BF5F8
	v_lshrrev_b32_e32 v28, 16, v28                             // 00000000AB9C: 20383890
	v_cmp_u_f32_e64 s[74:75], v31, v31                         // 00000000ABA0: D048004A 00023F1F
	v_bfe_u32 v248, v31, 16, 1                                 // 00000000ABA8: D1C800F8 0205211F
	v_add3_u32 v248, v31, v248, v251                           // 00000000ABB0: D1FF00F8 07EFF11F
	v_cndmask_b32_e64 v29, v248, v250, s[74:75]                // 00000000ABB8: D100001D 012BF5F8
	v_and_or_b32 v167, v29, v249, v28                          // 00000000ABC0: D20100A7 0473F31D
	ds_write_b64 v25, v[152:153]                               // 00000000ABC8: D89A0000 00009819
	ds_write_b64 v25, v[154:155] offset:528                    // 00000000ABD0: D89A0210 00009A19
	ds_write_b64 v25, v[156:157] offset:1056                   // 00000000ABD8: D89A0420 00009C19
	ds_write_b64 v25, v[158:159] offset:1584                   // 00000000ABE0: D89A0630 00009E19
	ds_write_b64 v25, v[160:161] offset:2112                   // 00000000ABE8: D89A0840 0000A019
	ds_write_b64 v25, v[162:163] offset:2640                   // 00000000ABF0: D89A0A50 0000A219
	ds_write_b64 v25, v[164:165] offset:3168                   // 00000000ABF8: D89A0C60 0000A419
	ds_write_b64 v25, v[166:167] offset:3696                   // 00000000AC00: D89A0E70 0000A619
	s_waitcnt lgkmcnt(0)                                       // 00000000AC08: BF8CC07F
	s_barrier                                                  // 00000000AC0C: BF8A0000
	ds_read_b64 v[152:153], v24                                // 00000000AC10: D8EC0000 98000018
	ds_read_b64 v[154:155], v24 offset:128                     // 00000000AC18: D8EC0080 9A000018
	ds_read_b64 v[156:157], v24 offset:32                      // 00000000AC20: D8EC0020 9C000018
	ds_read_b64 v[158:159], v24 offset:160                     // 00000000AC28: D8EC00A0 9E000018
	ds_read_b64 v[160:161], v24 offset:64                      // 00000000AC30: D8EC0040 A0000018
	ds_read_b64 v[162:163], v24 offset:192                     // 00000000AC38: D8EC00C0 A2000018
	ds_read_b64 v[164:165], v24 offset:96                      // 00000000AC40: D8EC0060 A4000018
	ds_read_b64 v[166:167], v24 offset:224                     // 00000000AC48: D8EC00E0 A6000018
	s_waitcnt lgkmcnt(0)                                       // 00000000AC50: BF8CC07F
	s_mov_b32 s70, s53                                         // 00000000AC54: BEC60035
	s_mov_b64 exec, s[88:89]                                   // 00000000AC58: BEFE0158
	buffer_store_dwordx4 v[152:155], v6, s[40:43], 0 idxen     // 00000000AC5C: E07C2000 800A9806
	s_mov_b64 exec, s[84:85]                                   // 00000000AC64: BEFE0154
	v_add_u32_e32 v6, s70, v6                                  // 00000000AC68: 680C0C46
	s_mov_b64 exec, s[88:89]                                   // 00000000AC6C: BEFE0158
	buffer_store_dwordx4 v[156:159], v6, s[40:43], 0 idxen     // 00000000AC70: E07C2000 800A9C06
	s_mov_b64 exec, s[84:85]                                   // 00000000AC78: BEFE0154
	v_add_u32_e32 v6, s70, v6                                  // 00000000AC7C: 680C0C46
	s_mov_b64 exec, s[88:89]                                   // 00000000AC80: BEFE0158
	buffer_store_dwordx4 v[160:163], v6, s[40:43], 0 idxen     // 00000000AC84: E07C2000 800AA006
	s_mov_b64 exec, s[84:85]                                   // 00000000AC8C: BEFE0154
	v_add_u32_e32 v6, s70, v6                                  // 00000000AC90: 680C0C46
	s_mov_b64 exec, s[88:89]                                   // 00000000AC94: BEFE0158
	buffer_store_dwordx4 v[164:167], v6, s[40:43], 0 idxen     // 00000000AC98: E07C2000 800AA406
	s_mov_b64 exec, s[84:85]                                   // 00000000ACA0: BEFE0154
	v_add_u32_e32 v6, s70, v6                                  // 00000000ACA4: 680C0C46
	s_mul_i32 s60, 12, s70                                     // 00000000ACA8: 923C468C
	v_add_u32_e32 v6, s60, v6                                  // 00000000ACAC: 680C0C3C
	s_cmp_ge_i32 1, s73                                        // 00000000ACB0: BF034981
	s_cbranch_scc1 label_1EDA                                  // 00000000ACB4: BF850318
	v_mov_b32_e32 v30, v184                                    // 00000000ACB8: 7E3C03B8
	v_mov_b32_e32 v31, v185                                    // 00000000ACBC: 7E3E03B9
	v_cmp_u_f32_e64 s[74:75], v30, v30                         // 00000000ACC0: D048004A 00023D1E
	v_bfe_u32 v248, v30, 16, 1                                 // 00000000ACC8: D1C800F8 0205211E
	v_add3_u32 v248, v30, v248, v251                           // 00000000ACD0: D1FF00F8 07EFF11E
	v_cndmask_b32_e64 v28, v248, v250, s[74:75]                // 00000000ACD8: D100001C 012BF5F8
	v_lshrrev_b32_e32 v28, 16, v28                             // 00000000ACE0: 20383890
	v_cmp_u_f32_e64 s[74:75], v31, v31                         // 00000000ACE4: D048004A 00023F1F
	v_bfe_u32 v248, v31, 16, 1                                 // 00000000ACEC: D1C800F8 0205211F
	v_add3_u32 v248, v31, v248, v251                           // 00000000ACF4: D1FF00F8 07EFF11F
	v_cndmask_b32_e64 v29, v248, v250, s[74:75]                // 00000000ACFC: D100001D 012BF5F8
	v_and_or_b32 v168, v29, v249, v28                          // 00000000AD04: D20100A8 0473F31D
	v_mov_b32_e32 v30, v186                                    // 00000000AD0C: 7E3C03BA
	v_mov_b32_e32 v31, v187                                    // 00000000AD10: 7E3E03BB
	v_cmp_u_f32_e64 s[74:75], v30, v30                         // 00000000AD14: D048004A 00023D1E
	v_bfe_u32 v248, v30, 16, 1                                 // 00000000AD1C: D1C800F8 0205211E
	v_add3_u32 v248, v30, v248, v251                           // 00000000AD24: D1FF00F8 07EFF11E
	v_cndmask_b32_e64 v28, v248, v250, s[74:75]                // 00000000AD2C: D100001C 012BF5F8
	v_lshrrev_b32_e32 v28, 16, v28                             // 00000000AD34: 20383890
	v_cmp_u_f32_e64 s[74:75], v31, v31                         // 00000000AD38: D048004A 00023F1F
	v_bfe_u32 v248, v31, 16, 1                                 // 00000000AD40: D1C800F8 0205211F
	v_add3_u32 v248, v31, v248, v251                           // 00000000AD48: D1FF00F8 07EFF11F
	v_cndmask_b32_e64 v29, v248, v250, s[74:75]                // 00000000AD50: D100001D 012BF5F8
	v_and_or_b32 v169, v29, v249, v28                          // 00000000AD58: D20100A9 0473F31D
	v_mov_b32_e32 v30, v188                                    // 00000000AD60: 7E3C03BC
	v_mov_b32_e32 v31, v189                                    // 00000000AD64: 7E3E03BD
	v_cmp_u_f32_e64 s[74:75], v30, v30                         // 00000000AD68: D048004A 00023D1E
	v_bfe_u32 v248, v30, 16, 1                                 // 00000000AD70: D1C800F8 0205211E
	v_add3_u32 v248, v30, v248, v251                           // 00000000AD78: D1FF00F8 07EFF11E
	v_cndmask_b32_e64 v28, v248, v250, s[74:75]                // 00000000AD80: D100001C 012BF5F8
	v_lshrrev_b32_e32 v28, 16, v28                             // 00000000AD88: 20383890
	v_cmp_u_f32_e64 s[74:75], v31, v31                         // 00000000AD8C: D048004A 00023F1F
	v_bfe_u32 v248, v31, 16, 1                                 // 00000000AD94: D1C800F8 0205211F
	v_add3_u32 v248, v31, v248, v251                           // 00000000AD9C: D1FF00F8 07EFF11F
	v_cndmask_b32_e64 v29, v248, v250, s[74:75]                // 00000000ADA4: D100001D 012BF5F8
	v_and_or_b32 v170, v29, v249, v28                          // 00000000ADAC: D20100AA 0473F31D
	v_mov_b32_e32 v30, v190                                    // 00000000ADB4: 7E3C03BE
	v_mov_b32_e32 v31, v191                                    // 00000000ADB8: 7E3E03BF
	v_cmp_u_f32_e64 s[74:75], v30, v30                         // 00000000ADBC: D048004A 00023D1E
	v_bfe_u32 v248, v30, 16, 1                                 // 00000000ADC4: D1C800F8 0205211E
	v_add3_u32 v248, v30, v248, v251                           // 00000000ADCC: D1FF00F8 07EFF11E
	v_cndmask_b32_e64 v28, v248, v250, s[74:75]                // 00000000ADD4: D100001C 012BF5F8
	v_lshrrev_b32_e32 v28, 16, v28                             // 00000000ADDC: 20383890
	v_cmp_u_f32_e64 s[74:75], v31, v31                         // 00000000ADE0: D048004A 00023F1F
	v_bfe_u32 v248, v31, 16, 1                                 // 00000000ADE8: D1C800F8 0205211F
	v_add3_u32 v248, v31, v248, v251                           // 00000000ADF0: D1FF00F8 07EFF11F
	v_cndmask_b32_e64 v29, v248, v250, s[74:75]                // 00000000ADF8: D100001D 012BF5F8
	v_and_or_b32 v171, v29, v249, v28                          // 00000000AE00: D20100AB 0473F31D
	v_mov_b32_e32 v30, v192                                    // 00000000AE08: 7E3C03C0
	v_mov_b32_e32 v31, v193                                    // 00000000AE0C: 7E3E03C1
	v_cmp_u_f32_e64 s[74:75], v30, v30                         // 00000000AE10: D048004A 00023D1E
	v_bfe_u32 v248, v30, 16, 1                                 // 00000000AE18: D1C800F8 0205211E
	v_add3_u32 v248, v30, v248, v251                           // 00000000AE20: D1FF00F8 07EFF11E
	v_cndmask_b32_e64 v28, v248, v250, s[74:75]                // 00000000AE28: D100001C 012BF5F8
	v_lshrrev_b32_e32 v28, 16, v28                             // 00000000AE30: 20383890
	v_cmp_u_f32_e64 s[74:75], v31, v31                         // 00000000AE34: D048004A 00023F1F
	v_bfe_u32 v248, v31, 16, 1                                 // 00000000AE3C: D1C800F8 0205211F
	v_add3_u32 v248, v31, v248, v251                           // 00000000AE44: D1FF00F8 07EFF11F
	v_cndmask_b32_e64 v29, v248, v250, s[74:75]                // 00000000AE4C: D100001D 012BF5F8
	v_and_or_b32 v172, v29, v249, v28                          // 00000000AE54: D20100AC 0473F31D
	v_mov_b32_e32 v30, v194                                    // 00000000AE5C: 7E3C03C2
	v_mov_b32_e32 v31, v195                                    // 00000000AE60: 7E3E03C3
	v_cmp_u_f32_e64 s[74:75], v30, v30                         // 00000000AE64: D048004A 00023D1E
	v_bfe_u32 v248, v30, 16, 1                                 // 00000000AE6C: D1C800F8 0205211E
	v_add3_u32 v248, v30, v248, v251                           // 00000000AE74: D1FF00F8 07EFF11E
	v_cndmask_b32_e64 v28, v248, v250, s[74:75]                // 00000000AE7C: D100001C 012BF5F8
	v_lshrrev_b32_e32 v28, 16, v28                             // 00000000AE84: 20383890
	v_cmp_u_f32_e64 s[74:75], v31, v31                         // 00000000AE88: D048004A 00023F1F
	v_bfe_u32 v248, v31, 16, 1                                 // 00000000AE90: D1C800F8 0205211F
	v_add3_u32 v248, v31, v248, v251                           // 00000000AE98: D1FF00F8 07EFF11F
	v_cndmask_b32_e64 v29, v248, v250, s[74:75]                // 00000000AEA0: D100001D 012BF5F8
	v_and_or_b32 v173, v29, v249, v28                          // 00000000AEA8: D20100AD 0473F31D
	v_mov_b32_e32 v30, v196                                    // 00000000AEB0: 7E3C03C4
	v_mov_b32_e32 v31, v197                                    // 00000000AEB4: 7E3E03C5
	v_cmp_u_f32_e64 s[74:75], v30, v30                         // 00000000AEB8: D048004A 00023D1E
	v_bfe_u32 v248, v30, 16, 1                                 // 00000000AEC0: D1C800F8 0205211E
	v_add3_u32 v248, v30, v248, v251                           // 00000000AEC8: D1FF00F8 07EFF11E
	v_cndmask_b32_e64 v28, v248, v250, s[74:75]                // 00000000AED0: D100001C 012BF5F8
	v_lshrrev_b32_e32 v28, 16, v28                             // 00000000AED8: 20383890
	v_cmp_u_f32_e64 s[74:75], v31, v31                         // 00000000AEDC: D048004A 00023F1F
	v_bfe_u32 v248, v31, 16, 1                                 // 00000000AEE4: D1C800F8 0205211F
	v_add3_u32 v248, v31, v248, v251                           // 00000000AEEC: D1FF00F8 07EFF11F
	v_cndmask_b32_e64 v29, v248, v250, s[74:75]                // 00000000AEF4: D100001D 012BF5F8
	v_and_or_b32 v174, v29, v249, v28                          // 00000000AEFC: D20100AE 0473F31D
	v_mov_b32_e32 v30, v198                                    // 00000000AF04: 7E3C03C6
	v_mov_b32_e32 v31, v199                                    // 00000000AF08: 7E3E03C7
	v_cmp_u_f32_e64 s[74:75], v30, v30                         // 00000000AF0C: D048004A 00023D1E
	v_bfe_u32 v248, v30, 16, 1                                 // 00000000AF14: D1C800F8 0205211E
	v_add3_u32 v248, v30, v248, v251                           // 00000000AF1C: D1FF00F8 07EFF11E
	v_cndmask_b32_e64 v28, v248, v250, s[74:75]                // 00000000AF24: D100001C 012BF5F8
	v_lshrrev_b32_e32 v28, 16, v28                             // 00000000AF2C: 20383890
	v_cmp_u_f32_e64 s[74:75], v31, v31                         // 00000000AF30: D048004A 00023F1F
	v_bfe_u32 v248, v31, 16, 1                                 // 00000000AF38: D1C800F8 0205211F
	v_add3_u32 v248, v31, v248, v251                           // 00000000AF40: D1FF00F8 07EFF11F
	v_cndmask_b32_e64 v29, v248, v250, s[74:75]                // 00000000AF48: D100001D 012BF5F8
	v_and_or_b32 v175, v29, v249, v28                          // 00000000AF50: D20100AF 0473F31D
	v_mov_b32_e32 v30, v200                                    // 00000000AF58: 7E3C03C8
	v_mov_b32_e32 v31, v201                                    // 00000000AF5C: 7E3E03C9
	v_cmp_u_f32_e64 s[74:75], v30, v30                         // 00000000AF60: D048004A 00023D1E
	v_bfe_u32 v248, v30, 16, 1                                 // 00000000AF68: D1C800F8 0205211E
	v_add3_u32 v248, v30, v248, v251                           // 00000000AF70: D1FF00F8 07EFF11E
	v_cndmask_b32_e64 v28, v248, v250, s[74:75]                // 00000000AF78: D100001C 012BF5F8
	v_lshrrev_b32_e32 v28, 16, v28                             // 00000000AF80: 20383890
	v_cmp_u_f32_e64 s[74:75], v31, v31                         // 00000000AF84: D048004A 00023F1F
	v_bfe_u32 v248, v31, 16, 1                                 // 00000000AF8C: D1C800F8 0205211F
	v_add3_u32 v248, v31, v248, v251                           // 00000000AF94: D1FF00F8 07EFF11F
	v_cndmask_b32_e64 v29, v248, v250, s[74:75]                // 00000000AF9C: D100001D 012BF5F8
	v_and_or_b32 v176, v29, v249, v28                          // 00000000AFA4: D20100B0 0473F31D
	v_mov_b32_e32 v30, v202                                    // 00000000AFAC: 7E3C03CA
	v_mov_b32_e32 v31, v203                                    // 00000000AFB0: 7E3E03CB
	v_cmp_u_f32_e64 s[74:75], v30, v30                         // 00000000AFB4: D048004A 00023D1E
	v_bfe_u32 v248, v30, 16, 1                                 // 00000000AFBC: D1C800F8 0205211E
	v_add3_u32 v248, v30, v248, v251                           // 00000000AFC4: D1FF00F8 07EFF11E
	v_cndmask_b32_e64 v28, v248, v250, s[74:75]                // 00000000AFCC: D100001C 012BF5F8
	v_lshrrev_b32_e32 v28, 16, v28                             // 00000000AFD4: 20383890
	v_cmp_u_f32_e64 s[74:75], v31, v31                         // 00000000AFD8: D048004A 00023F1F
	v_bfe_u32 v248, v31, 16, 1                                 // 00000000AFE0: D1C800F8 0205211F
	v_add3_u32 v248, v31, v248, v251                           // 00000000AFE8: D1FF00F8 07EFF11F
	v_cndmask_b32_e64 v29, v248, v250, s[74:75]                // 00000000AFF0: D100001D 012BF5F8
	v_and_or_b32 v177, v29, v249, v28                          // 00000000AFF8: D20100B1 0473F31D
	v_mov_b32_e32 v30, v204                                    // 00000000B000: 7E3C03CC
	v_mov_b32_e32 v31, v205                                    // 00000000B004: 7E3E03CD
	v_cmp_u_f32_e64 s[74:75], v30, v30                         // 00000000B008: D048004A 00023D1E
	v_bfe_u32 v248, v30, 16, 1                                 // 00000000B010: D1C800F8 0205211E
	v_add3_u32 v248, v30, v248, v251                           // 00000000B018: D1FF00F8 07EFF11E
	v_cndmask_b32_e64 v28, v248, v250, s[74:75]                // 00000000B020: D100001C 012BF5F8
	v_lshrrev_b32_e32 v28, 16, v28                             // 00000000B028: 20383890
	v_cmp_u_f32_e64 s[74:75], v31, v31                         // 00000000B02C: D048004A 00023F1F
	v_bfe_u32 v248, v31, 16, 1                                 // 00000000B034: D1C800F8 0205211F
	v_add3_u32 v248, v31, v248, v251                           // 00000000B03C: D1FF00F8 07EFF11F
	v_cndmask_b32_e64 v29, v248, v250, s[74:75]                // 00000000B044: D100001D 012BF5F8
	v_and_or_b32 v178, v29, v249, v28                          // 00000000B04C: D20100B2 0473F31D
	v_mov_b32_e32 v30, v206                                    // 00000000B054: 7E3C03CE
	v_mov_b32_e32 v31, v207                                    // 00000000B058: 7E3E03CF
	v_cmp_u_f32_e64 s[74:75], v30, v30                         // 00000000B05C: D048004A 00023D1E
	v_bfe_u32 v248, v30, 16, 1                                 // 00000000B064: D1C800F8 0205211E
	v_add3_u32 v248, v30, v248, v251                           // 00000000B06C: D1FF00F8 07EFF11E
	v_cndmask_b32_e64 v28, v248, v250, s[74:75]                // 00000000B074: D100001C 012BF5F8
	v_lshrrev_b32_e32 v28, 16, v28                             // 00000000B07C: 20383890
	v_cmp_u_f32_e64 s[74:75], v31, v31                         // 00000000B080: D048004A 00023F1F
	v_bfe_u32 v248, v31, 16, 1                                 // 00000000B088: D1C800F8 0205211F
	v_add3_u32 v248, v31, v248, v251                           // 00000000B090: D1FF00F8 07EFF11F
	v_cndmask_b32_e64 v29, v248, v250, s[74:75]                // 00000000B098: D100001D 012BF5F8
	v_and_or_b32 v179, v29, v249, v28                          // 00000000B0A0: D20100B3 0473F31D
	v_mov_b32_e32 v30, v208                                    // 00000000B0A8: 7E3C03D0
	v_mov_b32_e32 v31, v209                                    // 00000000B0AC: 7E3E03D1
	v_cmp_u_f32_e64 s[74:75], v30, v30                         // 00000000B0B0: D048004A 00023D1E
	v_bfe_u32 v248, v30, 16, 1                                 // 00000000B0B8: D1C800F8 0205211E
	v_add3_u32 v248, v30, v248, v251                           // 00000000B0C0: D1FF00F8 07EFF11E
	v_cndmask_b32_e64 v28, v248, v250, s[74:75]                // 00000000B0C8: D100001C 012BF5F8
	v_lshrrev_b32_e32 v28, 16, v28                             // 00000000B0D0: 20383890
	v_cmp_u_f32_e64 s[74:75], v31, v31                         // 00000000B0D4: D048004A 00023F1F
	v_bfe_u32 v248, v31, 16, 1                                 // 00000000B0DC: D1C800F8 0205211F
	v_add3_u32 v248, v31, v248, v251                           // 00000000B0E4: D1FF00F8 07EFF11F
	v_cndmask_b32_e64 v29, v248, v250, s[74:75]                // 00000000B0EC: D100001D 012BF5F8
	v_and_or_b32 v180, v29, v249, v28                          // 00000000B0F4: D20100B4 0473F31D
	v_mov_b32_e32 v30, v210                                    // 00000000B0FC: 7E3C03D2
	v_mov_b32_e32 v31, v211                                    // 00000000B100: 7E3E03D3
	v_cmp_u_f32_e64 s[74:75], v30, v30                         // 00000000B104: D048004A 00023D1E
	v_bfe_u32 v248, v30, 16, 1                                 // 00000000B10C: D1C800F8 0205211E
	v_add3_u32 v248, v30, v248, v251                           // 00000000B114: D1FF00F8 07EFF11E
	v_cndmask_b32_e64 v28, v248, v250, s[74:75]                // 00000000B11C: D100001C 012BF5F8
	v_lshrrev_b32_e32 v28, 16, v28                             // 00000000B124: 20383890
	v_cmp_u_f32_e64 s[74:75], v31, v31                         // 00000000B128: D048004A 00023F1F
	v_bfe_u32 v248, v31, 16, 1                                 // 00000000B130: D1C800F8 0205211F
	v_add3_u32 v248, v31, v248, v251                           // 00000000B138: D1FF00F8 07EFF11F
	v_cndmask_b32_e64 v29, v248, v250, s[74:75]                // 00000000B140: D100001D 012BF5F8
	v_and_or_b32 v181, v29, v249, v28                          // 00000000B148: D20100B5 0473F31D
	v_mov_b32_e32 v30, v212                                    // 00000000B150: 7E3C03D4
	v_mov_b32_e32 v31, v213                                    // 00000000B154: 7E3E03D5
	v_cmp_u_f32_e64 s[74:75], v30, v30                         // 00000000B158: D048004A 00023D1E
	v_bfe_u32 v248, v30, 16, 1                                 // 00000000B160: D1C800F8 0205211E
	v_add3_u32 v248, v30, v248, v251                           // 00000000B168: D1FF00F8 07EFF11E
	v_cndmask_b32_e64 v28, v248, v250, s[74:75]                // 00000000B170: D100001C 012BF5F8
	v_lshrrev_b32_e32 v28, 16, v28                             // 00000000B178: 20383890
	v_cmp_u_f32_e64 s[74:75], v31, v31                         // 00000000B17C: D048004A 00023F1F
	v_bfe_u32 v248, v31, 16, 1                                 // 00000000B184: D1C800F8 0205211F
	v_add3_u32 v248, v31, v248, v251                           // 00000000B18C: D1FF00F8 07EFF11F
	v_cndmask_b32_e64 v29, v248, v250, s[74:75]                // 00000000B194: D100001D 012BF5F8
	v_and_or_b32 v182, v29, v249, v28                          // 00000000B19C: D20100B6 0473F31D
	v_mov_b32_e32 v30, v214                                    // 00000000B1A4: 7E3C03D6
	v_mov_b32_e32 v31, v215                                    // 00000000B1A8: 7E3E03D7
	v_cmp_u_f32_e64 s[74:75], v30, v30                         // 00000000B1AC: D048004A 00023D1E
	v_bfe_u32 v248, v30, 16, 1                                 // 00000000B1B4: D1C800F8 0205211E
	v_add3_u32 v248, v30, v248, v251                           // 00000000B1BC: D1FF00F8 07EFF11E
	v_cndmask_b32_e64 v28, v248, v250, s[74:75]                // 00000000B1C4: D100001C 012BF5F8
	v_lshrrev_b32_e32 v28, 16, v28                             // 00000000B1CC: 20383890
	v_cmp_u_f32_e64 s[74:75], v31, v31                         // 00000000B1D0: D048004A 00023F1F
	v_bfe_u32 v248, v31, 16, 1                                 // 00000000B1D8: D1C800F8 0205211F
	v_add3_u32 v248, v31, v248, v251                           // 00000000B1E0: D1FF00F8 07EFF11F
	v_cndmask_b32_e64 v29, v248, v250, s[74:75]                // 00000000B1E8: D100001D 012BF5F8
	v_and_or_b32 v183, v29, v249, v28                          // 00000000B1F0: D20100B7 0473F31D
	ds_write_b64 v25, v[168:169] offset:16896                  // 00000000B1F8: D89A4200 0000A819
	ds_write_b64 v25, v[170:171] offset:17424                  // 00000000B200: D89A4410 0000AA19
	ds_write_b64 v25, v[172:173] offset:17952                  // 00000000B208: D89A4620 0000AC19
	ds_write_b64 v25, v[174:175] offset:18480                  // 00000000B210: D89A4830 0000AE19
	ds_write_b64 v25, v[176:177] offset:19008                  // 00000000B218: D89A4A40 0000B019
	ds_write_b64 v25, v[178:179] offset:19536                  // 00000000B220: D89A4C50 0000B219
	ds_write_b64 v25, v[180:181] offset:20064                  // 00000000B228: D89A4E60 0000B419
	ds_write_b64 v25, v[182:183] offset:20592                  // 00000000B230: D89A5070 0000B619
	s_waitcnt lgkmcnt(0)                                       // 00000000B238: BF8CC07F
	s_barrier                                                  // 00000000B23C: BF8A0000
	ds_read_b64 v[168:169], v24 offset:16896                   // 00000000B240: D8EC4200 A8000018
	ds_read_b64 v[170:171], v24 offset:17024                   // 00000000B248: D8EC4280 AA000018
	ds_read_b64 v[172:173], v24 offset:16928                   // 00000000B250: D8EC4220 AC000018
	ds_read_b64 v[174:175], v24 offset:17056                   // 00000000B258: D8EC42A0 AE000018
	ds_read_b64 v[176:177], v24 offset:16960                   // 00000000B260: D8EC4240 B0000018
	ds_read_b64 v[178:179], v24 offset:17088                   // 00000000B268: D8EC42C0 B2000018
	ds_read_b64 v[180:181], v24 offset:16992                   // 00000000B270: D8EC4260 B4000018
	ds_read_b64 v[182:183], v24 offset:17120                   // 00000000B278: D8EC42E0 B6000018
	s_waitcnt lgkmcnt(0)                                       // 00000000B280: BF8CC07F
	s_mov_b32 s70, s53                                         // 00000000B284: BEC60035
	s_mov_b64 exec, s[88:89]                                   // 00000000B288: BEFE0158
	buffer_store_dwordx4 v[168:171], v6, s[40:43], 0 idxen     // 00000000B28C: E07C2000 800AA806
	s_mov_b64 exec, s[84:85]                                   // 00000000B294: BEFE0154
	v_add_u32_e32 v6, s70, v6                                  // 00000000B298: 680C0C46
	s_mov_b64 exec, s[88:89]                                   // 00000000B29C: BEFE0158
	buffer_store_dwordx4 v[172:175], v6, s[40:43], 0 idxen     // 00000000B2A0: E07C2000 800AAC06
	s_mov_b64 exec, s[84:85]                                   // 00000000B2A8: BEFE0154
	v_add_u32_e32 v6, s70, v6                                  // 00000000B2AC: 680C0C46
	s_mov_b64 exec, s[88:89]                                   // 00000000B2B0: BEFE0158
	buffer_store_dwordx4 v[176:179], v6, s[40:43], 0 idxen     // 00000000B2B4: E07C2000 800AB006
	s_mov_b64 exec, s[84:85]                                   // 00000000B2BC: BEFE0154
	v_add_u32_e32 v6, s70, v6                                  // 00000000B2C0: 680C0C46
	s_mov_b64 exec, s[88:89]                                   // 00000000B2C4: BEFE0158
	buffer_store_dwordx4 v[180:183], v6, s[40:43], 0 idxen     // 00000000B2C8: E07C2000 800AB406
	s_mov_b64 exec, s[84:85]                                   // 00000000B2D0: BEFE0154
	v_add_u32_e32 v6, s70, v6                                  // 00000000B2D4: 680C0C46
	s_mul_i32 s60, 12, s70                                     // 00000000B2D8: 923C468C
	v_add_u32_e32 v6, s60, v6                                  // 00000000B2DC: 680C0C3C
	s_cmp_ge_i32 2, s73                                        // 00000000B2E0: BF034982
	s_cbranch_scc1 label_1EDA                                  // 00000000B2E4: BF85018C
	v_mov_b32_e32 v30, v216                                    // 00000000B2E8: 7E3C03D8
	v_mov_b32_e32 v31, v217                                    // 00000000B2EC: 7E3E03D9
	v_cmp_u_f32_e64 s[74:75], v30, v30                         // 00000000B2F0: D048004A 00023D1E
	v_bfe_u32 v248, v30, 16, 1                                 // 00000000B2F8: D1C800F8 0205211E
	v_add3_u32 v248, v30, v248, v251                           // 00000000B300: D1FF00F8 07EFF11E
	v_cndmask_b32_e64 v28, v248, v250, s[74:75]                // 00000000B308: D100001C 012BF5F8
	v_lshrrev_b32_e32 v28, 16, v28                             // 00000000B310: 20383890
	v_cmp_u_f32_e64 s[74:75], v31, v31                         // 00000000B314: D048004A 00023F1F
	v_bfe_u32 v248, v31, 16, 1                                 // 00000000B31C: D1C800F8 0205211F
	v_add3_u32 v248, v31, v248, v251                           // 00000000B324: D1FF00F8 07EFF11F
	v_cndmask_b32_e64 v29, v248, v250, s[74:75]                // 00000000B32C: D100001D 012BF5F8
	v_and_or_b32 v184, v29, v249, v28                          // 00000000B334: D20100B8 0473F31D
	v_mov_b32_e32 v30, v218                                    // 00000000B33C: 7E3C03DA
	v_mov_b32_e32 v31, v219                                    // 00000000B340: 7E3E03DB
	v_cmp_u_f32_e64 s[74:75], v30, v30                         // 00000000B344: D048004A 00023D1E
	v_bfe_u32 v248, v30, 16, 1                                 // 00000000B34C: D1C800F8 0205211E
	v_add3_u32 v248, v30, v248, v251                           // 00000000B354: D1FF00F8 07EFF11E
	v_cndmask_b32_e64 v28, v248, v250, s[74:75]                // 00000000B35C: D100001C 012BF5F8
	v_lshrrev_b32_e32 v28, 16, v28                             // 00000000B364: 20383890
	v_cmp_u_f32_e64 s[74:75], v31, v31                         // 00000000B368: D048004A 00023F1F
	v_bfe_u32 v248, v31, 16, 1                                 // 00000000B370: D1C800F8 0205211F
	v_add3_u32 v248, v31, v248, v251                           // 00000000B378: D1FF00F8 07EFF11F
	v_cndmask_b32_e64 v29, v248, v250, s[74:75]                // 00000000B380: D100001D 012BF5F8
	v_and_or_b32 v185, v29, v249, v28                          // 00000000B388: D20100B9 0473F31D
	v_mov_b32_e32 v30, v220                                    // 00000000B390: 7E3C03DC
	v_mov_b32_e32 v31, v221                                    // 00000000B394: 7E3E03DD
	v_cmp_u_f32_e64 s[74:75], v30, v30                         // 00000000B398: D048004A 00023D1E
	v_bfe_u32 v248, v30, 16, 1                                 // 00000000B3A0: D1C800F8 0205211E
	v_add3_u32 v248, v30, v248, v251                           // 00000000B3A8: D1FF00F8 07EFF11E
	v_cndmask_b32_e64 v28, v248, v250, s[74:75]                // 00000000B3B0: D100001C 012BF5F8
	v_lshrrev_b32_e32 v28, 16, v28                             // 00000000B3B8: 20383890
	v_cmp_u_f32_e64 s[74:75], v31, v31                         // 00000000B3BC: D048004A 00023F1F
	v_bfe_u32 v248, v31, 16, 1                                 // 00000000B3C4: D1C800F8 0205211F
	v_add3_u32 v248, v31, v248, v251                           // 00000000B3CC: D1FF00F8 07EFF11F
	v_cndmask_b32_e64 v29, v248, v250, s[74:75]                // 00000000B3D4: D100001D 012BF5F8
	v_and_or_b32 v186, v29, v249, v28                          // 00000000B3DC: D20100BA 0473F31D
	v_mov_b32_e32 v30, v222                                    // 00000000B3E4: 7E3C03DE
	v_mov_b32_e32 v31, v223                                    // 00000000B3E8: 7E3E03DF
	v_cmp_u_f32_e64 s[74:75], v30, v30                         // 00000000B3EC: D048004A 00023D1E
	v_bfe_u32 v248, v30, 16, 1                                 // 00000000B3F4: D1C800F8 0205211E
	v_add3_u32 v248, v30, v248, v251                           // 00000000B3FC: D1FF00F8 07EFF11E
	v_cndmask_b32_e64 v28, v248, v250, s[74:75]                // 00000000B404: D100001C 012BF5F8
	v_lshrrev_b32_e32 v28, 16, v28                             // 00000000B40C: 20383890
	v_cmp_u_f32_e64 s[74:75], v31, v31                         // 00000000B410: D048004A 00023F1F
	v_bfe_u32 v248, v31, 16, 1                                 // 00000000B418: D1C800F8 0205211F
	v_add3_u32 v248, v31, v248, v251                           // 00000000B420: D1FF00F8 07EFF11F
	v_cndmask_b32_e64 v29, v248, v250, s[74:75]                // 00000000B428: D100001D 012BF5F8
	v_and_or_b32 v187, v29, v249, v28                          // 00000000B430: D20100BB 0473F31D
	v_mov_b32_e32 v30, v224                                    // 00000000B438: 7E3C03E0
	v_mov_b32_e32 v31, v225                                    // 00000000B43C: 7E3E03E1
	v_cmp_u_f32_e64 s[74:75], v30, v30                         // 00000000B440: D048004A 00023D1E
	v_bfe_u32 v248, v30, 16, 1                                 // 00000000B448: D1C800F8 0205211E
	v_add3_u32 v248, v30, v248, v251                           // 00000000B450: D1FF00F8 07EFF11E
	v_cndmask_b32_e64 v28, v248, v250, s[74:75]                // 00000000B458: D100001C 012BF5F8
	v_lshrrev_b32_e32 v28, 16, v28                             // 00000000B460: 20383890
	v_cmp_u_f32_e64 s[74:75], v31, v31                         // 00000000B464: D048004A 00023F1F
	v_bfe_u32 v248, v31, 16, 1                                 // 00000000B46C: D1C800F8 0205211F
	v_add3_u32 v248, v31, v248, v251                           // 00000000B474: D1FF00F8 07EFF11F
	v_cndmask_b32_e64 v29, v248, v250, s[74:75]                // 00000000B47C: D100001D 012BF5F8
	v_and_or_b32 v188, v29, v249, v28                          // 00000000B484: D20100BC 0473F31D
	v_mov_b32_e32 v30, v226                                    // 00000000B48C: 7E3C03E2
	v_mov_b32_e32 v31, v227                                    // 00000000B490: 7E3E03E3
	v_cmp_u_f32_e64 s[74:75], v30, v30                         // 00000000B494: D048004A 00023D1E
	v_bfe_u32 v248, v30, 16, 1                                 // 00000000B49C: D1C800F8 0205211E
	v_add3_u32 v248, v30, v248, v251                           // 00000000B4A4: D1FF00F8 07EFF11E
	v_cndmask_b32_e64 v28, v248, v250, s[74:75]                // 00000000B4AC: D100001C 012BF5F8
	v_lshrrev_b32_e32 v28, 16, v28                             // 00000000B4B4: 20383890
	v_cmp_u_f32_e64 s[74:75], v31, v31                         // 00000000B4B8: D048004A 00023F1F
	v_bfe_u32 v248, v31, 16, 1                                 // 00000000B4C0: D1C800F8 0205211F
	v_add3_u32 v248, v31, v248, v251                           // 00000000B4C8: D1FF00F8 07EFF11F
	v_cndmask_b32_e64 v29, v248, v250, s[74:75]                // 00000000B4D0: D100001D 012BF5F8
	v_and_or_b32 v189, v29, v249, v28                          // 00000000B4D8: D20100BD 0473F31D
	v_mov_b32_e32 v30, v228                                    // 00000000B4E0: 7E3C03E4
	v_mov_b32_e32 v31, v229                                    // 00000000B4E4: 7E3E03E5
	v_cmp_u_f32_e64 s[74:75], v30, v30                         // 00000000B4E8: D048004A 00023D1E
	v_bfe_u32 v248, v30, 16, 1                                 // 00000000B4F0: D1C800F8 0205211E
	v_add3_u32 v248, v30, v248, v251                           // 00000000B4F8: D1FF00F8 07EFF11E
	v_cndmask_b32_e64 v28, v248, v250, s[74:75]                // 00000000B500: D100001C 012BF5F8
	v_lshrrev_b32_e32 v28, 16, v28                             // 00000000B508: 20383890
	v_cmp_u_f32_e64 s[74:75], v31, v31                         // 00000000B50C: D048004A 00023F1F
	v_bfe_u32 v248, v31, 16, 1                                 // 00000000B514: D1C800F8 0205211F
	v_add3_u32 v248, v31, v248, v251                           // 00000000B51C: D1FF00F8 07EFF11F
	v_cndmask_b32_e64 v29, v248, v250, s[74:75]                // 00000000B524: D100001D 012BF5F8
	v_and_or_b32 v190, v29, v249, v28                          // 00000000B52C: D20100BE 0473F31D
	v_mov_b32_e32 v30, v230                                    // 00000000B534: 7E3C03E6
	v_mov_b32_e32 v31, v231                                    // 00000000B538: 7E3E03E7
	v_cmp_u_f32_e64 s[74:75], v30, v30                         // 00000000B53C: D048004A 00023D1E
	v_bfe_u32 v248, v30, 16, 1                                 // 00000000B544: D1C800F8 0205211E
	v_add3_u32 v248, v30, v248, v251                           // 00000000B54C: D1FF00F8 07EFF11E
	v_cndmask_b32_e64 v28, v248, v250, s[74:75]                // 00000000B554: D100001C 012BF5F8
	v_lshrrev_b32_e32 v28, 16, v28                             // 00000000B55C: 20383890
	v_cmp_u_f32_e64 s[74:75], v31, v31                         // 00000000B560: D048004A 00023F1F
	v_bfe_u32 v248, v31, 16, 1                                 // 00000000B568: D1C800F8 0205211F
	v_add3_u32 v248, v31, v248, v251                           // 00000000B570: D1FF00F8 07EFF11F
	v_cndmask_b32_e64 v29, v248, v250, s[74:75]                // 00000000B578: D100001D 012BF5F8
	v_and_or_b32 v191, v29, v249, v28                          // 00000000B580: D20100BF 0473F31D
	v_mov_b32_e32 v30, v232                                    // 00000000B588: 7E3C03E8
	v_mov_b32_e32 v31, v233                                    // 00000000B58C: 7E3E03E9
	v_cmp_u_f32_e64 s[74:75], v30, v30                         // 00000000B590: D048004A 00023D1E
	v_bfe_u32 v248, v30, 16, 1                                 // 00000000B598: D1C800F8 0205211E
	v_add3_u32 v248, v30, v248, v251                           // 00000000B5A0: D1FF00F8 07EFF11E
	v_cndmask_b32_e64 v28, v248, v250, s[74:75]                // 00000000B5A8: D100001C 012BF5F8
	v_lshrrev_b32_e32 v28, 16, v28                             // 00000000B5B0: 20383890
	v_cmp_u_f32_e64 s[74:75], v31, v31                         // 00000000B5B4: D048004A 00023F1F
	v_bfe_u32 v248, v31, 16, 1                                 // 00000000B5BC: D1C800F8 0205211F
	v_add3_u32 v248, v31, v248, v251                           // 00000000B5C4: D1FF00F8 07EFF11F
	v_cndmask_b32_e64 v29, v248, v250, s[74:75]                // 00000000B5CC: D100001D 012BF5F8
	v_and_or_b32 v192, v29, v249, v28                          // 00000000B5D4: D20100C0 0473F31D
	v_mov_b32_e32 v30, v234                                    // 00000000B5DC: 7E3C03EA
	v_mov_b32_e32 v31, v235                                    // 00000000B5E0: 7E3E03EB
	v_cmp_u_f32_e64 s[74:75], v30, v30                         // 00000000B5E4: D048004A 00023D1E
	v_bfe_u32 v248, v30, 16, 1                                 // 00000000B5EC: D1C800F8 0205211E
	v_add3_u32 v248, v30, v248, v251                           // 00000000B5F4: D1FF00F8 07EFF11E
	v_cndmask_b32_e64 v28, v248, v250, s[74:75]                // 00000000B5FC: D100001C 012BF5F8
	v_lshrrev_b32_e32 v28, 16, v28                             // 00000000B604: 20383890
	v_cmp_u_f32_e64 s[74:75], v31, v31                         // 00000000B608: D048004A 00023F1F
	v_bfe_u32 v248, v31, 16, 1                                 // 00000000B610: D1C800F8 0205211F
	v_add3_u32 v248, v31, v248, v251                           // 00000000B618: D1FF00F8 07EFF11F
	v_cndmask_b32_e64 v29, v248, v250, s[74:75]                // 00000000B620: D100001D 012BF5F8
	v_and_or_b32 v193, v29, v249, v28                          // 00000000B628: D20100C1 0473F31D
	v_mov_b32_e32 v30, v236                                    // 00000000B630: 7E3C03EC
	v_mov_b32_e32 v31, v237                                    // 00000000B634: 7E3E03ED
	v_cmp_u_f32_e64 s[74:75], v30, v30                         // 00000000B638: D048004A 00023D1E
	v_bfe_u32 v248, v30, 16, 1                                 // 00000000B640: D1C800F8 0205211E
	v_add3_u32 v248, v30, v248, v251                           // 00000000B648: D1FF00F8 07EFF11E
	v_cndmask_b32_e64 v28, v248, v250, s[74:75]                // 00000000B650: D100001C 012BF5F8
	v_lshrrev_b32_e32 v28, 16, v28                             // 00000000B658: 20383890
	v_cmp_u_f32_e64 s[74:75], v31, v31                         // 00000000B65C: D048004A 00023F1F
	v_bfe_u32 v248, v31, 16, 1                                 // 00000000B664: D1C800F8 0205211F
	v_add3_u32 v248, v31, v248, v251                           // 00000000B66C: D1FF00F8 07EFF11F
	v_cndmask_b32_e64 v29, v248, v250, s[74:75]                // 00000000B674: D100001D 012BF5F8
	v_and_or_b32 v194, v29, v249, v28                          // 00000000B67C: D20100C2 0473F31D
	v_mov_b32_e32 v30, v238                                    // 00000000B684: 7E3C03EE
	v_mov_b32_e32 v31, v239                                    // 00000000B688: 7E3E03EF
	v_cmp_u_f32_e64 s[74:75], v30, v30                         // 00000000B68C: D048004A 00023D1E
	v_bfe_u32 v248, v30, 16, 1                                 // 00000000B694: D1C800F8 0205211E
	v_add3_u32 v248, v30, v248, v251                           // 00000000B69C: D1FF00F8 07EFF11E
	v_cndmask_b32_e64 v28, v248, v250, s[74:75]                // 00000000B6A4: D100001C 012BF5F8
	v_lshrrev_b32_e32 v28, 16, v28                             // 00000000B6AC: 20383890
	v_cmp_u_f32_e64 s[74:75], v31, v31                         // 00000000B6B0: D048004A 00023F1F
	v_bfe_u32 v248, v31, 16, 1                                 // 00000000B6B8: D1C800F8 0205211F
	v_add3_u32 v248, v31, v248, v251                           // 00000000B6C0: D1FF00F8 07EFF11F
	v_cndmask_b32_e64 v29, v248, v250, s[74:75]                // 00000000B6C8: D100001D 012BF5F8
	v_and_or_b32 v195, v29, v249, v28                          // 00000000B6D0: D20100C3 0473F31D
	v_mov_b32_e32 v30, v240                                    // 00000000B6D8: 7E3C03F0
	v_mov_b32_e32 v31, v241                                    // 00000000B6DC: 7E3E03F1
	v_cmp_u_f32_e64 s[74:75], v30, v30                         // 00000000B6E0: D048004A 00023D1E
	v_bfe_u32 v248, v30, 16, 1                                 // 00000000B6E8: D1C800F8 0205211E
	v_add3_u32 v248, v30, v248, v251                           // 00000000B6F0: D1FF00F8 07EFF11E
	v_cndmask_b32_e64 v28, v248, v250, s[74:75]                // 00000000B6F8: D100001C 012BF5F8
	v_lshrrev_b32_e32 v28, 16, v28                             // 00000000B700: 20383890
	v_cmp_u_f32_e64 s[74:75], v31, v31                         // 00000000B704: D048004A 00023F1F
	v_bfe_u32 v248, v31, 16, 1                                 // 00000000B70C: D1C800F8 0205211F
	v_add3_u32 v248, v31, v248, v251                           // 00000000B714: D1FF00F8 07EFF11F
	v_cndmask_b32_e64 v29, v248, v250, s[74:75]                // 00000000B71C: D100001D 012BF5F8
	v_and_or_b32 v196, v29, v249, v28                          // 00000000B724: D20100C4 0473F31D
	v_mov_b32_e32 v30, v242                                    // 00000000B72C: 7E3C03F2
	v_mov_b32_e32 v31, v243                                    // 00000000B730: 7E3E03F3
	v_cmp_u_f32_e64 s[74:75], v30, v30                         // 00000000B734: D048004A 00023D1E
	v_bfe_u32 v248, v30, 16, 1                                 // 00000000B73C: D1C800F8 0205211E
	v_add3_u32 v248, v30, v248, v251                           // 00000000B744: D1FF00F8 07EFF11E
	v_cndmask_b32_e64 v28, v248, v250, s[74:75]                // 00000000B74C: D100001C 012BF5F8
	v_lshrrev_b32_e32 v28, 16, v28                             // 00000000B754: 20383890
	v_cmp_u_f32_e64 s[74:75], v31, v31                         // 00000000B758: D048004A 00023F1F
	v_bfe_u32 v248, v31, 16, 1                                 // 00000000B760: D1C800F8 0205211F
	v_add3_u32 v248, v31, v248, v251                           // 00000000B768: D1FF00F8 07EFF11F
	v_cndmask_b32_e64 v29, v248, v250, s[74:75]                // 00000000B770: D100001D 012BF5F8
	v_and_or_b32 v197, v29, v249, v28                          // 00000000B778: D20100C5 0473F31D
	v_mov_b32_e32 v30, v244                                    // 00000000B780: 7E3C03F4
	v_mov_b32_e32 v31, v245                                    // 00000000B784: 7E3E03F5
	v_cmp_u_f32_e64 s[74:75], v30, v30                         // 00000000B788: D048004A 00023D1E
	v_bfe_u32 v248, v30, 16, 1                                 // 00000000B790: D1C800F8 0205211E
	v_add3_u32 v248, v30, v248, v251                           // 00000000B798: D1FF00F8 07EFF11E
	v_cndmask_b32_e64 v28, v248, v250, s[74:75]                // 00000000B7A0: D100001C 012BF5F8
	v_lshrrev_b32_e32 v28, 16, v28                             // 00000000B7A8: 20383890
	v_cmp_u_f32_e64 s[74:75], v31, v31                         // 00000000B7AC: D048004A 00023F1F
	v_bfe_u32 v248, v31, 16, 1                                 // 00000000B7B4: D1C800F8 0205211F
	v_add3_u32 v248, v31, v248, v251                           // 00000000B7BC: D1FF00F8 07EFF11F
	v_cndmask_b32_e64 v29, v248, v250, s[74:75]                // 00000000B7C4: D100001D 012BF5F8
	v_and_or_b32 v198, v29, v249, v28                          // 00000000B7CC: D20100C6 0473F31D
	v_mov_b32_e32 v30, v246                                    // 00000000B7D4: 7E3C03F6
	v_mov_b32_e32 v31, v247                                    // 00000000B7D8: 7E3E03F7
	v_cmp_u_f32_e64 s[74:75], v30, v30                         // 00000000B7DC: D048004A 00023D1E
	v_bfe_u32 v248, v30, 16, 1                                 // 00000000B7E4: D1C800F8 0205211E
	v_add3_u32 v248, v30, v248, v251                           // 00000000B7EC: D1FF00F8 07EFF11E
	v_cndmask_b32_e64 v28, v248, v250, s[74:75]                // 00000000B7F4: D100001C 012BF5F8
	v_lshrrev_b32_e32 v28, 16, v28                             // 00000000B7FC: 20383890
	v_cmp_u_f32_e64 s[74:75], v31, v31                         // 00000000B800: D048004A 00023F1F
	v_bfe_u32 v248, v31, 16, 1                                 // 00000000B808: D1C800F8 0205211F
	v_add3_u32 v248, v31, v248, v251                           // 00000000B810: D1FF00F8 07EFF11F
	v_cndmask_b32_e64 v29, v248, v250, s[74:75]                // 00000000B818: D100001D 012BF5F8
	v_and_or_b32 v199, v29, v249, v28                          // 00000000B820: D20100C7 0473F31D
	ds_write_b64 v25, v[184:185] offset:33792                  // 00000000B828: D89A8400 0000B819
	ds_write_b64 v25, v[186:187] offset:34320                  // 00000000B830: D89A8610 0000BA19
	ds_write_b64 v25, v[188:189] offset:34848                  // 00000000B838: D89A8820 0000BC19
	ds_write_b64 v25, v[190:191] offset:35376                  // 00000000B840: D89A8A30 0000BE19
	ds_write_b64 v25, v[192:193] offset:35904                  // 00000000B848: D89A8C40 0000C019
	ds_write_b64 v25, v[194:195] offset:36432                  // 00000000B850: D89A8E50 0000C219
	ds_write_b64 v25, v[196:197] offset:36960                  // 00000000B858: D89A9060 0000C419
	ds_write_b64 v25, v[198:199] offset:37488                  // 00000000B860: D89A9270 0000C619
	s_waitcnt lgkmcnt(0)                                       // 00000000B868: BF8CC07F
	s_barrier                                                  // 00000000B86C: BF8A0000
	ds_read_b64 v[184:185], v24 offset:33792                   // 00000000B870: D8EC8400 B8000018
	ds_read_b64 v[186:187], v24 offset:33920                   // 00000000B878: D8EC8480 BA000018
	ds_read_b64 v[188:189], v24 offset:33824                   // 00000000B880: D8EC8420 BC000018
	ds_read_b64 v[190:191], v24 offset:33952                   // 00000000B888: D8EC84A0 BE000018
	ds_read_b64 v[192:193], v24 offset:33856                   // 00000000B890: D8EC8440 C0000018
	ds_read_b64 v[194:195], v24 offset:33984                   // 00000000B898: D8EC84C0 C2000018
	ds_read_b64 v[196:197], v24 offset:33888                   // 00000000B8A0: D8EC8460 C4000018
	ds_read_b64 v[198:199], v24 offset:34016                   // 00000000B8A8: D8EC84E0 C6000018
	s_waitcnt lgkmcnt(0)                                       // 00000000B8B0: BF8CC07F
	s_mov_b32 s70, s53                                         // 00000000B8B4: BEC60035
	s_mov_b64 exec, s[88:89]                                   // 00000000B8B8: BEFE0158
	buffer_store_dwordx4 v[184:187], v6, s[40:43], 0 idxen     // 00000000B8BC: E07C2000 800AB806
	s_mov_b64 exec, s[84:85]                                   // 00000000B8C4: BEFE0154
	v_add_u32_e32 v6, s70, v6                                  // 00000000B8C8: 680C0C46
	s_mov_b64 exec, s[88:89]                                   // 00000000B8CC: BEFE0158
	buffer_store_dwordx4 v[188:191], v6, s[40:43], 0 idxen     // 00000000B8D0: E07C2000 800ABC06
	s_mov_b64 exec, s[84:85]                                   // 00000000B8D8: BEFE0154
	v_add_u32_e32 v6, s70, v6                                  // 00000000B8DC: 680C0C46
	s_mov_b64 exec, s[88:89]                                   // 00000000B8E0: BEFE0158
	buffer_store_dwordx4 v[192:195], v6, s[40:43], 0 idxen     // 00000000B8E4: E07C2000 800AC006
	s_mov_b64 exec, s[84:85]                                   // 00000000B8EC: BEFE0154
	v_add_u32_e32 v6, s70, v6                                  // 00000000B8F0: 680C0C46
	s_mov_b64 exec, s[88:89]                                   // 00000000B8F4: BEFE0158
	buffer_store_dwordx4 v[196:199], v6, s[40:43], 0 idxen     // 00000000B8F8: E07C2000 800AC406
	s_mov_b64 exec, s[84:85]                                   // 00000000B900: BEFE0154
	v_add_u32_e32 v6, s70, v6                                  // 00000000B904: 680C0C46
	s_mul_i32 s60, 12, s70                                     // 00000000B908: 923C468C
	v_add_u32_e32 v6, s60, v6                                  // 00000000B90C: 680C0C3C
	s_cmp_ge_i32 3, s73                                        // 00000000B910: BF034983
	s_cbranch_scc1 label_1EDA                                  // 00000000B914: BF850000

000000000000b918 <label_1EDA>:
	s_waitcnt vmcnt(0) expcnt(0) lgkmcnt(0)                    // 00000000B918: BF8C0000
	s_endpgm                                                   // 00000000B91C: BF810000
